;; amdgpu-corpus repo=ROCm/rocFFT kind=compiled arch=gfx906 opt=O3
	.text
	.amdgcn_target "amdgcn-amd-amdhsa--gfx906"
	.amdhsa_code_object_version 6
	.protected	bluestein_single_back_len1755_dim1_half_op_CI_CI ; -- Begin function bluestein_single_back_len1755_dim1_half_op_CI_CI
	.globl	bluestein_single_back_len1755_dim1_half_op_CI_CI
	.p2align	8
	.type	bluestein_single_back_len1755_dim1_half_op_CI_CI,@function
bluestein_single_back_len1755_dim1_half_op_CI_CI: ; @bluestein_single_back_len1755_dim1_half_op_CI_CI
; %bb.0:
	s_load_dwordx4 s[8:11], s[4:5], 0x28
	v_mul_u32_u24_e32 v1, 0x231, v0
	v_add_u32_sdwa v14, s6, v1 dst_sel:DWORD dst_unused:UNUSED_PAD src0_sel:DWORD src1_sel:WORD_1
	v_mov_b32_e32 v15, 0
	s_waitcnt lgkmcnt(0)
	v_cmp_gt_u64_e32 vcc, s[8:9], v[14:15]
	s_and_saveexec_b64 s[0:1], vcc
	s_cbranch_execz .LBB0_15
; %bb.1:
	s_load_dwordx4 s[0:3], s[4:5], 0x18
	s_movk_i32 s18, 0x1000
	s_load_dwordx2 s[6:7], s[4:5], 0x38
	s_waitcnt lgkmcnt(0)
	s_load_dwordx4 s[12:15], s[0:1], 0x0
	s_movk_i32 s0, 0x75
	v_mul_lo_u16_sdwa v1, v1, s0 dst_sel:DWORD dst_unused:UNUSED_PAD src0_sel:WORD_1 src1_sel:DWORD
	v_sub_u16_e32 v79, v0, v1
	v_lshlrev_b32_e32 v67, 2, v79
	s_waitcnt lgkmcnt(0)
	v_mad_u64_u32 v[0:1], s[0:1], s14, v14, 0
	v_mad_u64_u32 v[2:3], s[0:1], s12, v79, 0
	;; [unrolled: 1-line block ×3, first 2 shown]
	s_load_dwordx2 s[14:15], s[4:5], 0x0
	v_mad_u64_u32 v[5:6], s[0:1], s13, v79, v[3:4]
	v_mov_b32_e32 v1, v4
	v_lshlrev_b64 v[0:1], 2, v[0:1]
	v_mov_b32_e32 v6, s11
	v_mov_b32_e32 v3, v5
	v_add_co_u32_e32 v4, vcc, s10, v0
	v_addc_co_u32_e32 v5, vcc, v6, v1, vcc
	v_lshlrev_b64 v[0:1], 2, v[2:3]
	s_waitcnt lgkmcnt(0)
	global_load_dword v81, v67, s[14:15]
	v_add_co_u32_e32 v0, vcc, v4, v0
	v_addc_co_u32_e32 v1, vcc, v5, v1, vcc
	global_load_dword v4, v[0:1], off
	s_load_dwordx4 s[8:11], s[2:3], 0x0
	s_mul_i32 s1, s13, 0x87
	s_mul_hi_u32 s2, s12, 0x87
	s_mul_i32 s0, s12, 0x87
	s_add_i32 s1, s2, s1
	s_lshl_b64 s[16:17], s[0:1], 2
	v_mov_b32_e32 v5, s17
	v_add_co_u32_e32 v0, vcc, s16, v0
	v_addc_co_u32_e32 v1, vcc, v1, v5, vcc
	global_load_dword v80, v67, s[14:15] offset:540
	global_load_dword v78, v67, s[14:15] offset:1080
	global_load_dword v6, v[0:1], off
	v_add_co_u32_e32 v0, vcc, s16, v0
	v_addc_co_u32_e32 v1, vcc, v1, v5, vcc
	global_load_dword v7, v[0:1], off
	v_add_co_u32_e32 v0, vcc, s16, v0
	v_addc_co_u32_e32 v1, vcc, v1, v5, vcc
	global_load_dword v8, v[0:1], off
	global_load_dword v77, v67, s[14:15] offset:1620
	global_load_dword v76, v67, s[14:15] offset:2160
	;; [unrolled: 1-line block ×5, first 2 shown]
	v_add_co_u32_e32 v0, vcc, s16, v0
	v_addc_co_u32_e32 v1, vcc, v1, v5, vcc
	global_load_dword v9, v[0:1], off
	v_add_co_u32_e32 v0, vcc, s16, v0
	v_addc_co_u32_e32 v1, vcc, v1, v5, vcc
	v_mov_b32_e32 v2, s15
	global_load_dword v10, v[0:1], off
	v_add_co_u32_e64 v12, s[2:3], s14, v67
	v_addc_co_u32_e64 v13, vcc, 0, v2, s[2:3]
	v_add_co_u32_e32 v0, vcc, s16, v0
	v_addc_co_u32_e32 v1, vcc, v1, v5, vcc
	global_load_dword v11, v[0:1], off
	v_add_co_u32_e32 v2, vcc, s16, v0
	v_addc_co_u32_e32 v3, vcc, v1, v5, vcc
	global_load_dword v15, v[2:3], off
	v_add_co_u32_e32 v0, vcc, s18, v12
	v_addc_co_u32_e32 v1, vcc, 0, v13, vcc
	v_add_co_u32_e32 v2, vcc, s16, v2
	v_addc_co_u32_e32 v3, vcc, v3, v5, vcc
	global_load_dword v16, v[2:3], off
	global_load_dword v72, v[0:1], off offset:224
	global_load_dword v71, v[0:1], off offset:764
	v_add_co_u32_e32 v2, vcc, s16, v2
	v_addc_co_u32_e32 v3, vcc, v3, v5, vcc
	global_load_dword v17, v[2:3], off
	v_add_co_u32_e32 v2, vcc, s16, v2
	v_addc_co_u32_e32 v3, vcc, v3, v5, vcc
	global_load_dword v20, v[2:3], off
	global_load_dword v70, v[0:1], off offset:1304
	v_add_co_u32_e32 v2, vcc, s16, v2
	v_addc_co_u32_e32 v3, vcc, v3, v5, vcc
	global_load_dword v21, v[2:3], off
	global_load_dword v69, v[0:1], off offset:1844
	v_add_co_u32_e32 v2, vcc, s16, v2
	v_addc_co_u32_e32 v3, vcc, v3, v5, vcc
	v_cmp_gt_u16_e64 s[0:1], 18, v79
	s_waitcnt vmcnt(22)
	v_lshrrev_b32_e32 v18, 16, v4
	v_mul_f16_sdwa v19, v81, v18 dst_sel:DWORD dst_unused:UNUSED_PAD src0_sel:WORD_1 src1_sel:DWORD
	v_fma_f16 v19, v81, v4, v19
	v_mul_f16_sdwa v4, v81, v4 dst_sel:DWORD dst_unused:UNUSED_PAD src0_sel:WORD_1 src1_sel:DWORD
	v_fma_f16 v4, v81, v18, -v4
	global_load_dword v18, v[2:3], off
	global_load_dword v68, v[0:1], off offset:2384
	v_pack_b32_f16 v4, v19, v4
	s_waitcnt vmcnt(21)
	v_lshrrev_b32_e32 v5, 16, v6
	v_mul_f16_sdwa v19, v80, v5 dst_sel:DWORD dst_unused:UNUSED_PAD src0_sel:WORD_1 src1_sel:DWORD
	v_fma_f16 v19, v80, v6, v19
	v_mul_f16_sdwa v6, v80, v6 dst_sel:DWORD dst_unused:UNUSED_PAD src0_sel:WORD_1 src1_sel:DWORD
	v_fma_f16 v5, v80, v5, -v6
	v_pack_b32_f16 v5, v19, v5
	ds_write2_b32 v67, v4, v5 offset1:135
	s_waitcnt vmcnt(20)
	v_lshrrev_b32_e32 v4, 16, v7
	v_mul_f16_sdwa v5, v78, v4 dst_sel:DWORD dst_unused:UNUSED_PAD src0_sel:WORD_1 src1_sel:DWORD
	v_mul_f16_sdwa v6, v78, v7 dst_sel:DWORD dst_unused:UNUSED_PAD src0_sel:WORD_1 src1_sel:DWORD
	v_fma_f16 v5, v78, v7, v5
	v_fma_f16 v4, v78, v4, -v6
	v_pack_b32_f16 v5, v5, v4
	s_waitcnt vmcnt(19)
	v_lshrrev_b32_e32 v4, 16, v8
	s_waitcnt vmcnt(18)
	v_mul_f16_sdwa v6, v77, v4 dst_sel:DWORD dst_unused:UNUSED_PAD src0_sel:WORD_1 src1_sel:DWORD
	v_mul_f16_sdwa v7, v77, v8 dst_sel:DWORD dst_unused:UNUSED_PAD src0_sel:WORD_1 src1_sel:DWORD
	v_fma_f16 v6, v77, v8, v6
	v_fma_f16 v4, v77, v4, -v7
	v_pack_b32_f16 v6, v6, v4
	v_add_u32_e32 v4, 0x400, v67
	ds_write2_b32 v4, v5, v6 offset0:14 offset1:149
	s_waitcnt vmcnt(13)
	v_lshrrev_b32_e32 v5, 16, v9
	v_mul_f16_sdwa v6, v76, v5 dst_sel:DWORD dst_unused:UNUSED_PAD src0_sel:WORD_1 src1_sel:DWORD
	v_mul_f16_sdwa v7, v76, v9 dst_sel:DWORD dst_unused:UNUSED_PAD src0_sel:WORD_1 src1_sel:DWORD
	v_fma_f16 v6, v76, v9, v6
	v_fma_f16 v5, v76, v5, -v7
	v_pack_b32_f16 v6, v6, v5
	s_waitcnt vmcnt(12)
	v_lshrrev_b32_e32 v5, 16, v10
	v_mul_f16_sdwa v7, v75, v5 dst_sel:DWORD dst_unused:UNUSED_PAD src0_sel:WORD_1 src1_sel:DWORD
	v_mul_f16_sdwa v8, v75, v10 dst_sel:DWORD dst_unused:UNUSED_PAD src0_sel:WORD_1 src1_sel:DWORD
	v_fma_f16 v7, v75, v10, v7
	v_fma_f16 v5, v75, v5, -v8
	v_pack_b32_f16 v7, v7, v5
	v_add_u32_e32 v5, 0x800, v67
	ds_write2_b32 v5, v6, v7 offset0:28 offset1:163
	s_waitcnt vmcnt(11)
	v_lshrrev_b32_e32 v6, 16, v11
	v_mul_f16_sdwa v7, v74, v6 dst_sel:DWORD dst_unused:UNUSED_PAD src0_sel:WORD_1 src1_sel:DWORD
	v_mul_f16_sdwa v8, v74, v11 dst_sel:DWORD dst_unused:UNUSED_PAD src0_sel:WORD_1 src1_sel:DWORD
	v_fma_f16 v7, v74, v11, v7
	v_fma_f16 v6, v74, v6, -v8
	v_pack_b32_f16 v7, v7, v6
	s_waitcnt vmcnt(10)
	v_lshrrev_b32_e32 v6, 16, v15
	v_mul_f16_sdwa v8, v73, v6 dst_sel:DWORD dst_unused:UNUSED_PAD src0_sel:WORD_1 src1_sel:DWORD
	v_mul_f16_sdwa v9, v73, v15 dst_sel:DWORD dst_unused:UNUSED_PAD src0_sel:WORD_1 src1_sel:DWORD
	v_fma_f16 v8, v73, v15, v8
	v_fma_f16 v6, v73, v6, -v9
	v_pack_b32_f16 v8, v8, v6
	v_add_u32_e32 v6, 0xc00, v67
	ds_write2_b32 v6, v7, v8 offset0:42 offset1:177
	s_waitcnt vmcnt(9)
	v_lshrrev_b32_e32 v7, 16, v16
	s_waitcnt vmcnt(8)
	v_mul_f16_sdwa v8, v72, v7 dst_sel:DWORD dst_unused:UNUSED_PAD src0_sel:WORD_1 src1_sel:DWORD
	v_mul_f16_sdwa v9, v72, v16 dst_sel:DWORD dst_unused:UNUSED_PAD src0_sel:WORD_1 src1_sel:DWORD
	v_fma_f16 v8, v72, v16, v8
	v_fma_f16 v7, v72, v7, -v9
	v_pack_b32_f16 v8, v8, v7
	s_waitcnt vmcnt(6)
	v_lshrrev_b32_e32 v7, 16, v17
	v_mul_f16_sdwa v9, v71, v7 dst_sel:DWORD dst_unused:UNUSED_PAD src0_sel:WORD_1 src1_sel:DWORD
	v_mul_f16_sdwa v10, v71, v17 dst_sel:DWORD dst_unused:UNUSED_PAD src0_sel:WORD_1 src1_sel:DWORD
	v_fma_f16 v9, v71, v17, v9
	v_fma_f16 v7, v71, v7, -v10
	v_pack_b32_f16 v9, v9, v7
	v_add_u32_e32 v7, 0x1000, v67
	ds_write2_b32 v7, v8, v9 offset0:56 offset1:191
	s_waitcnt vmcnt(5)
	v_lshrrev_b32_e32 v8, 16, v20
	s_waitcnt vmcnt(4)
	v_mul_f16_sdwa v9, v70, v8 dst_sel:DWORD dst_unused:UNUSED_PAD src0_sel:WORD_1 src1_sel:DWORD
	v_mul_f16_sdwa v10, v70, v20 dst_sel:DWORD dst_unused:UNUSED_PAD src0_sel:WORD_1 src1_sel:DWORD
	v_fma_f16 v9, v70, v20, v9
	v_fma_f16 v8, v70, v8, -v10
	v_pack_b32_f16 v9, v9, v8
	s_waitcnt vmcnt(3)
	v_lshrrev_b32_e32 v8, 16, v21
	s_waitcnt vmcnt(2)
	v_mul_f16_sdwa v10, v69, v8 dst_sel:DWORD dst_unused:UNUSED_PAD src0_sel:WORD_1 src1_sel:DWORD
	v_mul_f16_sdwa v11, v69, v21 dst_sel:DWORD dst_unused:UNUSED_PAD src0_sel:WORD_1 src1_sel:DWORD
	v_fma_f16 v10, v69, v21, v10
	v_fma_f16 v8, v69, v8, -v11
	v_pack_b32_f16 v10, v10, v8
	v_add_u32_e32 v8, 0x1400, v67
	ds_write2_b32 v8, v9, v10 offset0:70 offset1:205
	s_waitcnt vmcnt(1)
	v_lshrrev_b32_e32 v9, 16, v18
	s_waitcnt vmcnt(0)
	v_mul_f16_sdwa v10, v68, v9 dst_sel:DWORD dst_unused:UNUSED_PAD src0_sel:WORD_1 src1_sel:DWORD
	v_mul_f16_sdwa v11, v68, v18 dst_sel:DWORD dst_unused:UNUSED_PAD src0_sel:WORD_1 src1_sel:DWORD
	v_fma_f16 v10, v68, v18, v10
	v_fma_f16 v9, v68, v9, -v11
	v_pack_b32_f16 v9, v10, v9
	ds_write_b32 v67, v9 offset:6480
	s_and_saveexec_b64 s[18:19], s[0:1]
	s_cbranch_execz .LBB0_3
; %bb.2:
	v_mov_b32_e32 v9, 0xffffe884
	v_mad_u64_u32 v[2:3], s[20:21], s12, v9, v[2:3]
	s_mulk_i32 s13, 0xe884
	s_sub_i32 s12, s13, s12
	v_add_u32_e32 v3, s12, v3
	global_load_dword v9, v[2:3], off
	global_load_dword v10, v[12:13], off offset:468
	v_mov_b32_e32 v11, s17
	v_add_co_u32_e32 v2, vcc, s16, v2
	v_addc_co_u32_e32 v3, vcc, v3, v11, vcc
	global_load_dword v15, v[2:3], off
	global_load_dword v16, v[12:13], off offset:1008
	v_add_co_u32_e32 v2, vcc, s16, v2
	v_addc_co_u32_e32 v3, vcc, v3, v11, vcc
	global_load_dword v17, v[2:3], off
	global_load_dword v18, v[12:13], off offset:1548
	;; [unrolled: 4-line block ×7, first 2 shown]
	global_load_dword v29, v[0:1], off offset:692
	v_add_co_u32_e32 v2, vcc, s16, v2
	v_addc_co_u32_e32 v3, vcc, v3, v11, vcc
	global_load_dword v30, v[2:3], off
	v_add_co_u32_e32 v2, vcc, s16, v2
	v_addc_co_u32_e32 v3, vcc, v3, v11, vcc
	global_load_dword v31, v[2:3], off
	global_load_dword v32, v[0:1], off offset:1232
	global_load_dword v33, v[0:1], off offset:1772
	;; [unrolled: 1-line block ×4, first 2 shown]
	v_add_co_u32_e32 v0, vcc, s16, v2
	v_addc_co_u32_e32 v1, vcc, v3, v11, vcc
	global_load_dword v2, v[0:1], off
	v_add_co_u32_e32 v0, vcc, s16, v0
	v_addc_co_u32_e32 v1, vcc, v1, v11, vcc
	global_load_dword v3, v[0:1], off
	;; [unrolled: 3-line block ×3, first 2 shown]
	s_waitcnt vmcnt(25)
	v_lshrrev_b32_e32 v1, 16, v9
	s_waitcnt vmcnt(24)
	v_mul_f16_sdwa v11, v10, v9 dst_sel:DWORD dst_unused:UNUSED_PAD src0_sel:WORD_1 src1_sel:DWORD
	v_mul_f16_sdwa v36, v10, v1 dst_sel:DWORD dst_unused:UNUSED_PAD src0_sel:WORD_1 src1_sel:DWORD
	v_fma_f16 v1, v10, v1, -v11
	v_fma_f16 v9, v10, v9, v36
	v_pack_b32_f16 v1, v9, v1
	s_waitcnt vmcnt(23)
	v_lshrrev_b32_e32 v11, 16, v15
	s_waitcnt vmcnt(22)
	v_mul_f16_sdwa v10, v16, v11 dst_sel:DWORD dst_unused:UNUSED_PAD src0_sel:WORD_1 src1_sel:DWORD
	v_fma_f16 v9, v16, v15, v10
	v_mul_f16_sdwa v10, v16, v15 dst_sel:DWORD dst_unused:UNUSED_PAD src0_sel:WORD_1 src1_sel:DWORD
	v_fma_f16 v10, v16, v11, -v10
	v_pack_b32_f16 v9, v9, v10
	ds_write2_b32 v67, v1, v9 offset0:117 offset1:252
	s_waitcnt vmcnt(21)
	v_lshrrev_b32_e32 v1, 16, v17
	s_waitcnt vmcnt(20)
	v_mul_f16_sdwa v9, v18, v1 dst_sel:DWORD dst_unused:UNUSED_PAD src0_sel:WORD_1 src1_sel:DWORD
	v_mul_f16_sdwa v10, v18, v17 dst_sel:DWORD dst_unused:UNUSED_PAD src0_sel:WORD_1 src1_sel:DWORD
	v_fma_f16 v9, v18, v17, v9
	v_fma_f16 v1, v18, v1, -v10
	v_pack_b32_f16 v1, v9, v1
	s_waitcnt vmcnt(19)
	v_lshrrev_b32_e32 v9, 16, v19
	s_waitcnt vmcnt(18)
	v_mul_f16_sdwa v10, v20, v9 dst_sel:DWORD dst_unused:UNUSED_PAD src0_sel:WORD_1 src1_sel:DWORD
	v_mul_f16_sdwa v11, v20, v19 dst_sel:DWORD dst_unused:UNUSED_PAD src0_sel:WORD_1 src1_sel:DWORD
	v_fma_f16 v10, v20, v19, v10
	v_fma_f16 v9, v20, v9, -v11
	v_pack_b32_f16 v9, v10, v9
	v_add_u32_e32 v10, 0x600, v67
	ds_write2_b32 v10, v1, v9 offset0:3 offset1:138
	s_waitcnt vmcnt(17)
	v_lshrrev_b32_e32 v1, 16, v21
	s_waitcnt vmcnt(16)
	v_mul_f16_sdwa v9, v22, v1 dst_sel:DWORD dst_unused:UNUSED_PAD src0_sel:WORD_1 src1_sel:DWORD
	v_mul_f16_sdwa v10, v22, v21 dst_sel:DWORD dst_unused:UNUSED_PAD src0_sel:WORD_1 src1_sel:DWORD
	v_fma_f16 v9, v22, v21, v9
	v_fma_f16 v1, v22, v1, -v10
	v_pack_b32_f16 v1, v9, v1
	s_waitcnt vmcnt(15)
	v_lshrrev_b32_e32 v9, 16, v23
	s_waitcnt vmcnt(14)
	v_mul_f16_sdwa v10, v24, v9 dst_sel:DWORD dst_unused:UNUSED_PAD src0_sel:WORD_1 src1_sel:DWORD
	v_mul_f16_sdwa v11, v24, v23 dst_sel:DWORD dst_unused:UNUSED_PAD src0_sel:WORD_1 src1_sel:DWORD
	v_fma_f16 v10, v24, v23, v10
	v_fma_f16 v9, v24, v9, -v11
	v_pack_b32_f16 v9, v10, v9
	v_add_u32_e32 v10, 0xa00, v67
	;; [unrolled: 18-line block ×3, first 2 shown]
	ds_write2_b32 v10, v1, v9 offset0:31 offset1:166
	s_waitcnt vmcnt(8)
	v_lshrrev_b32_e32 v1, 16, v30
	v_mul_f16_sdwa v9, v29, v1 dst_sel:DWORD dst_unused:UNUSED_PAD src0_sel:WORD_1 src1_sel:DWORD
	v_mul_f16_sdwa v10, v29, v30 dst_sel:DWORD dst_unused:UNUSED_PAD src0_sel:WORD_1 src1_sel:DWORD
	v_fma_f16 v9, v29, v30, v9
	v_fma_f16 v1, v29, v1, -v10
	v_pack_b32_f16 v1, v9, v1
	s_waitcnt vmcnt(7)
	v_lshrrev_b32_e32 v9, 16, v31
	s_waitcnt vmcnt(6)
	v_mul_f16_sdwa v10, v32, v9 dst_sel:DWORD dst_unused:UNUSED_PAD src0_sel:WORD_1 src1_sel:DWORD
	v_mul_f16_sdwa v11, v32, v31 dst_sel:DWORD dst_unused:UNUSED_PAD src0_sel:WORD_1 src1_sel:DWORD
	v_fma_f16 v10, v32, v31, v10
	v_fma_f16 v9, v32, v9, -v11
	v_pack_b32_f16 v9, v10, v9
	v_add_u32_e32 v10, 0x1200, v67
	ds_write2_b32 v10, v1, v9 offset0:45 offset1:180
	s_waitcnt vmcnt(2)
	v_lshrrev_b32_e32 v1, 16, v2
	v_mul_f16_sdwa v9, v33, v1 dst_sel:DWORD dst_unused:UNUSED_PAD src0_sel:WORD_1 src1_sel:DWORD
	v_fma_f16 v9, v33, v2, v9
	v_mul_f16_sdwa v2, v33, v2 dst_sel:DWORD dst_unused:UNUSED_PAD src0_sel:WORD_1 src1_sel:DWORD
	v_fma_f16 v1, v33, v1, -v2
	s_waitcnt vmcnt(1)
	v_lshrrev_b32_e32 v2, 16, v3
	v_pack_b32_f16 v1, v9, v1
	v_mul_f16_sdwa v9, v34, v2 dst_sel:DWORD dst_unused:UNUSED_PAD src0_sel:WORD_1 src1_sel:DWORD
	v_fma_f16 v9, v34, v3, v9
	v_mul_f16_sdwa v3, v34, v3 dst_sel:DWORD dst_unused:UNUSED_PAD src0_sel:WORD_1 src1_sel:DWORD
	v_fma_f16 v2, v34, v2, -v3
	v_pack_b32_f16 v2, v9, v2
	v_add_u32_e32 v3, 0x1600, v67
	ds_write2_b32 v3, v1, v2 offset0:59 offset1:194
	s_waitcnt vmcnt(0)
	v_lshrrev_b32_e32 v1, 16, v0
	v_mul_f16_sdwa v2, v35, v1 dst_sel:DWORD dst_unused:UNUSED_PAD src0_sel:WORD_1 src1_sel:DWORD
	v_fma_f16 v2, v35, v0, v2
	v_mul_f16_sdwa v0, v35, v0 dst_sel:DWORD dst_unused:UNUSED_PAD src0_sel:WORD_1 src1_sel:DWORD
	v_fma_f16 v0, v35, v1, -v0
	v_pack_b32_f16 v0, v2, v0
	ds_write_b32 v67, v0 offset:6948
.LBB0_3:
	s_or_b64 exec, exec, s[18:19]
	s_waitcnt lgkmcnt(0)
	s_barrier
	ds_read2_b32 v[23:24], v67 offset1:135
	ds_read2_b32 v[31:32], v4 offset0:14 offset1:149
	ds_read2_b32 v[27:28], v5 offset0:28 offset1:163
	;; [unrolled: 1-line block ×5, first 2 shown]
	ds_read_b32 v46, v67 offset:6480
	s_load_dwordx2 s[4:5], s[4:5], 0x8
	v_mov_b32_e32 v0, 0
                                        ; implicit-def: $vgpr3
                                        ; implicit-def: $vgpr8
                                        ; implicit-def: $vgpr5
                                        ; implicit-def: $vgpr10
                                        ; implicit-def: $vgpr7
                                        ; implicit-def: $vgpr35
	s_and_saveexec_b64 s[12:13], s[0:1]
	s_cbranch_execz .LBB0_5
; %bb.4:
	v_add_u32_e32 v2, 0x600, v67
	ds_read2_b32 v[6:7], v2 offset0:3 offset1:138
	v_add_u32_e32 v2, 0xa00, v67
	ds_read2_b32 v[4:5], v2 offset0:17 offset1:152
	v_add_u32_e32 v2, 0xe00, v67
	v_add_u32_e32 v8, 0x1200, v67
	;; [unrolled: 1-line block ×3, first 2 shown]
	ds_read2_b32 v[0:1], v67 offset0:117 offset1:252
	ds_read2_b32 v[2:3], v2 offset0:31 offset1:166
	;; [unrolled: 1-line block ×4, first 2 shown]
	ds_read_b32 v35, v67 offset:6948
.LBB0_5:
	s_or_b64 exec, exec, s[12:13]
	s_mov_b32 s21, 0xbb7b
	s_waitcnt lgkmcnt(0)
	v_pk_add_f16 v41, v6, v11 neg_lo:[0,1] neg_hi:[0,1]
	s_mov_b32 s14, 0xb5ac
	s_mov_b32 s19, 0xb3a8
	v_pk_add_f16 v37, v11, v6
	v_mul_f16_sdwa v38, v41, s21 dst_sel:DWORD dst_unused:UNUSED_PAD src0_sel:WORD_1 src1_sel:DWORD
	s_mov_b32 s17, 0xbbc4
	v_fma_f16 v44, v37, s14, -v38
	v_fma_f16 v45, v37, s14, v38
	v_mul_f16_sdwa v38, v41, s19 dst_sel:DWORD dst_unused:UNUSED_PAD src0_sel:WORD_1 src1_sel:DWORD
	s_movk_i32 s28, 0x394e
	s_mov_b32 s16, 0xb9fd
	v_fma_f16 v47, v37, s17, -v38
	v_fma_f16 v48, v37, s17, v38
	v_mul_f16_sdwa v38, v41, s28 dst_sel:DWORD dst_unused:UNUSED_PAD src0_sel:WORD_1 src1_sel:DWORD
	s_movk_i32 s26, 0x3bf1
	s_movk_i32 s13, 0x2fb7
	v_fma_f16 v50, v37, s16, -v38
	v_fma_f16 v51, v37, s16, v38
	v_mul_f16_sdwa v38, v41, s26 dst_sel:DWORD dst_unused:UNUSED_PAD src0_sel:WORD_1 src1_sel:DWORD
	v_pk_add_f16 v42, v7, v10 neg_lo:[0,1] neg_hi:[0,1]
	v_pk_add_f16 v40, v1, v35 neg_lo:[0,1] neg_hi:[0,1]
	s_mov_b32 s24, 0xba95
	v_fma_f16 v52, v37, s13, -v38
	v_fma_f16 v53, v37, s13, v38
	v_pk_add_f16 v38, v10, v7
	v_mul_f16_sdwa v39, v42, s19 dst_sel:DWORD dst_unused:UNUSED_PAD src0_sel:WORD_1 src1_sel:DWORD
	s_movk_i32 s29, 0x3b7b
	v_pk_add_f16 v36, v35, v1
	v_mul_f16_sdwa v15, v40, s24 dst_sel:DWORD dst_unused:UNUSED_PAD src0_sel:WORD_1 src1_sel:DWORD
	s_movk_i32 s12, 0x388b
	s_movk_i32 s27, 0x3770
	v_fma_f16 v54, v38, s17, -v39
	v_fma_f16 v55, v38, s17, v39
	v_mul_f16_sdwa v39, v42, s29 dst_sel:DWORD dst_unused:UNUSED_PAD src0_sel:WORD_1 src1_sel:DWORD
	s_movk_i32 s18, 0x3b15
	v_fma_f16 v16, v36, s12, -v15
	s_mov_b32 s22, 0xbbf1
	v_fma_f16 v56, v38, s14, -v39
	v_fma_f16 v57, v38, s14, v39
	v_mul_f16_sdwa v39, v42, s27 dst_sel:DWORD dst_unused:UNUSED_PAD src0_sel:WORD_1 src1_sel:DWORD
	v_fma_f16 v15, v36, s12, v15
	v_mul_f16_sdwa v17, v40, s22 dst_sel:DWORD dst_unused:UNUSED_PAD src0_sel:WORD_1 src1_sel:DWORD
	v_fma_f16 v58, v38, s18, -v39
	v_fma_f16 v59, v38, s18, v39
	v_mul_f16_sdwa v39, v42, s24 dst_sel:DWORD dst_unused:UNUSED_PAD src0_sel:WORD_1 src1_sel:DWORD
	v_pk_add_f16 v43, v4, v9 neg_lo:[0,1] neg_hi:[0,1]
	v_add_f16_e32 v16, v16, v0
	v_fma_f16 v18, v36, s13, -v17
	v_mul_f16_sdwa v19, v40, s21 dst_sel:DWORD dst_unused:UNUSED_PAD src0_sel:WORD_1 src1_sel:DWORD
	s_mov_b32 s20, 0xb94e
	v_fma_f16 v60, v38, s12, -v39
	v_fma_f16 v61, v38, s12, v39
	v_pk_add_f16 v39, v9, v4
	v_add_f16_e32 v16, v44, v16
	v_mul_f16_sdwa v44, v43, s28 dst_sel:DWORD dst_unused:UNUSED_PAD src0_sel:WORD_1 src1_sel:DWORD
	v_add_f16_e32 v15, v15, v0
	v_pk_add_f16 v49, v23, v24
	v_fma_f16 v17, v36, s13, v17
	v_fma_f16 v20, v36, s14, -v19
	v_fma_f16 v19, v36, s14, v19
	v_mul_f16_sdwa v21, v40, s20 dst_sel:DWORD dst_unused:UNUSED_PAD src0_sel:WORD_1 src1_sel:DWORD
	v_add_f16_e32 v15, v45, v15
	v_fma_f16 v45, v39, s16, -v44
	v_fma_f16 v62, v39, s16, v44
	v_add_f16_e32 v18, v18, v0
	v_mul_f16_sdwa v44, v43, s27 dst_sel:DWORD dst_unused:UNUSED_PAD src0_sel:WORD_1 src1_sel:DWORD
	v_fma_f16 v22, v36, s16, -v21
	v_fma_f16 v21, v36, s16, v21
	v_add_f16_e32 v18, v47, v18
	v_add_f16_e32 v17, v17, v0
	v_fma_f16 v47, v39, s18, -v44
	v_fma_f16 v63, v39, s18, v44
	v_add_f16_e32 v20, v20, v0
	v_mul_f16_sdwa v44, v43, s22 dst_sel:DWORD dst_unused:UNUSED_PAD src0_sel:WORD_1 src1_sel:DWORD
	v_add_f16_e32 v19, v19, v0
	s_movk_i32 s31, 0x33a8
	v_pk_add_f16 v49, v49, v31
	v_add_f16_e32 v17, v48, v17
	v_add_f16_e32 v20, v50, v20
	;; [unrolled: 1-line block ×3, first 2 shown]
	v_fma_f16 v50, v39, s13, -v44
	v_fma_f16 v51, v39, s13, v44
	v_add_f16_e32 v22, v22, v0
	v_mul_f16_sdwa v44, v43, s31 dst_sel:DWORD dst_unused:UNUSED_PAD src0_sel:WORD_1 src1_sel:DWORD
	v_add_f16_e32 v21, v21, v0
	v_pk_add_f16 v48, v5, v8 neg_lo:[0,1] neg_hi:[0,1]
	v_pk_add_f16 v49, v49, v32
	v_add_f16_e32 v22, v52, v22
	v_add_f16_e32 v21, v53, v21
	v_fma_f16 v52, v39, s17, -v44
	v_fma_f16 v53, v39, s17, v44
	v_add_f16_e32 v16, v54, v16
	v_pk_add_f16 v44, v8, v5
	v_add_f16_e32 v18, v56, v18
	v_mul_f16_sdwa v54, v48, s26 dst_sel:DWORD dst_unused:UNUSED_PAD src0_sel:WORD_1 src1_sel:DWORD
	v_pk_add_f16 v49, v49, v27
	s_movk_i32 s30, 0x3a95
	v_add_f16_e32 v15, v55, v15
	v_fma_f16 v55, v44, s13, -v54
	v_add_f16_e32 v20, v58, v20
	v_add_f16_e32 v19, v59, v19
	v_mul_f16_sdwa v58, v48, s31 dst_sel:DWORD dst_unused:UNUSED_PAD src0_sel:WORD_1 src1_sel:DWORD
	v_add_f16_e32 v16, v45, v16
	v_mul_f16_sdwa v45, v48, s27 dst_sel:DWORD dst_unused:UNUSED_PAD src0_sel:WORD_1 src1_sel:DWORD
	v_add_f16_e32 v18, v47, v18
	v_pk_add_f16 v47, v2, v3 neg_lo:[0,1] neg_hi:[0,1]
	v_pk_add_f16 v49, v49, v28
	v_add_f16_e32 v17, v57, v17
	v_fma_f16 v54, v44, s13, v54
	v_mul_f16_sdwa v56, v48, s24 dst_sel:DWORD dst_unused:UNUSED_PAD src0_sel:WORD_1 src1_sel:DWORD
	v_add_f16_e32 v22, v60, v22
	v_add_f16_e32 v21, v61, v21
	v_fma_f16 v59, v44, s17, -v58
	v_fma_f16 v58, v44, s17, v58
	v_add_f16_e32 v15, v62, v15
	v_fma_f16 v60, v44, s18, -v45
	v_fma_f16 v61, v44, s18, v45
	v_pk_add_f16 v45, v3, v2
	v_add_f16_e32 v19, v51, v19
	v_add_f16_e32 v16, v55, v16
	v_mul_f16_sdwa v55, v47, s30 dst_sel:DWORD dst_unused:UNUSED_PAD src0_sel:WORD_1 src1_sel:DWORD
	v_pk_add_f16 v49, v49, v25
	v_fma_f16 v57, v44, s12, -v56
	v_fma_f16 v56, v44, s12, v56
	v_add_f16_e32 v17, v63, v17
	v_add_f16_e32 v20, v50, v20
	v_mul_f16_sdwa v50, v47, s27 dst_sel:DWORD dst_unused:UNUSED_PAD src0_sel:WORD_1 src1_sel:DWORD
	v_add_f16_e32 v22, v52, v22
	v_mul_f16_sdwa v52, v47, s20 dst_sel:DWORD dst_unused:UNUSED_PAD src0_sel:WORD_1 src1_sel:DWORD
	v_add_f16_e32 v54, v54, v15
	v_fma_f16 v62, v45, s12, -v55
	v_fma_f16 v55, v45, s12, v55
	v_mul_f16_sdwa v15, v47, s21 dst_sel:DWORD dst_unused:UNUSED_PAD src0_sel:WORD_1 src1_sel:DWORD
	v_add_f16_e32 v58, v58, v19
	v_pk_add_f16 v49, v49, v26
	s_mov_b32 s23, 0xb770
	v_fma_f16 v51, v45, s18, -v50
	v_fma_f16 v50, v45, s18, v50
	v_add_f16_e32 v21, v53, v21
	v_fma_f16 v53, v45, s16, -v52
	v_add_f16_e32 v18, v57, v18
	v_add_f16_e32 v17, v56, v17
	v_fma_f16 v56, v45, s14, -v15
	v_add_f16_e32 v60, v60, v22
	v_add_f16_e32 v22, v55, v58
	v_pk_add_f16 v49, v49, v29
	v_pk_add_f16 v55, v24, v46 neg_lo:[0,1] neg_hi:[0,1]
	v_fma_f16 v57, v45, s14, v15
	v_add_f16_e32 v59, v59, v20
	v_add_f16_e32 v15, v51, v16
	;; [unrolled: 1-line block ×5, first 2 shown]
	v_pk_add_f16 v49, v49, v30
	v_pk_add_f16 v54, v46, v24
	v_mul_f16_sdwa v56, v55, s23 dst_sel:DWORD dst_unused:UNUSED_PAD src0_sel:WORD_1 src1_sel:DWORD
	v_pk_add_f16 v49, v49, v33
	v_fma_f16 v24, v54, s18, -v56
	s_mov_b32 s33, 0x3b15388b
	v_add_f16_e32 v21, v61, v21
	v_pk_add_f16 v53, v49, v34
	v_add_f16_e32 v49, v23, v24
	v_pk_mul_f16 v24, v54, s33
	s_mov_b32 s33, 0xba95b770
	v_add_f16_e32 v21, v57, v21
	s_mov_b32 s25, 0xffff
	v_pk_fma_f16 v57, v55, s33, v24 op_sel:[0,0,1] op_sel_hi:[1,1,0] neg_lo:[1,0,0] neg_hi:[1,0,0]
	v_pk_fma_f16 v58, v55, s33, v24 op_sel:[0,0,1] op_sel_hi:[1,1,0]
	v_bfi_b32 v24, s25, v58, v57
	v_pk_add_f16 v60, v31, v34 neg_lo:[0,1] neg_hi:[0,1]
	v_pk_add_f16 v50, v23, v24 op_sel:[1,0] op_sel_hi:[0,1]
	v_pk_add_f16 v24, v34, v31
	v_mul_f16_sdwa v31, v60, s24 dst_sel:DWORD dst_unused:UNUSED_PAD src0_sel:WORD_1 src1_sel:DWORD
	v_fma_f16 v52, v45, s16, v52
	v_fma_f16 v34, v24, s12, -v31
	s_mov_b32 s33, 0x388bb5ac
	v_add_f16_e32 v19, v52, v17
	v_add_f16_e32 v17, v62, v59
	;; [unrolled: 1-line block ×3, first 2 shown]
	v_pk_add_f16 v34, v33, v32
	v_pk_add_f16 v61, v32, v33 neg_lo:[0,1] neg_hi:[0,1]
	v_pk_add_f16 v32, v30, v27
	v_pk_add_f16 v62, v27, v30 neg_lo:[0,1] neg_hi:[0,1]
	;; [unrolled: 2-line block ×3, first 2 shown]
	v_pk_mul_f16 v28, v24, s33
	s_mov_b32 s33, 0xbb7bba95
	v_pk_fma_f16 v27, v60, s33, v28 op_sel:[0,0,1] op_sel_hi:[1,1,0] neg_lo:[1,0,0] neg_hi:[1,0,0]
	v_pk_fma_f16 v64, v60, s33, v28 op_sel:[0,0,1] op_sel_hi:[1,1,0]
	v_lshrrev_b32_e32 v59, 16, v54
	v_bfi_b32 v28, s25, v64, v27
	v_mul_f16_e32 v65, 0xba95, v55
	v_pk_add_f16 v33, v28, v50
	v_fma_f16 v28, v59, s12, v65
	v_lshrrev_b32_e32 v66, 16, v24
	v_mul_f16_e32 v83, 0xbb7b, v60
	v_add_f16_sdwa v28, v23, v28 dst_sel:DWORD dst_unused:UNUSED_PAD src0_sel:WORD_1 src1_sel:DWORD
	v_fma_f16 v29, v66, s14, v83
	v_add_f16_e32 v50, v29, v28
	v_mul_f16_sdwa v29, v61, s22 dst_sel:DWORD dst_unused:UNUSED_PAD src0_sel:WORD_1 src1_sel:DWORD
	v_fma_f16 v28, v34, s13, -v29
	s_mov_b32 s33, 0x2fb7bbc4
	v_add_f16_e32 v51, v28, v49
	s_mov_b32 s34, 0xb3a8bbf1
	v_pk_mul_f16 v49, v34, s33
	v_pk_fma_f16 v28, v61, s34, v49 op_sel:[0,0,1] op_sel_hi:[1,1,0] neg_lo:[1,0,0] neg_hi:[1,0,0]
	v_pk_fma_f16 v84, v61, s34, v49 op_sel:[0,0,1] op_sel_hi:[1,1,0]
	v_bfi_b32 v49, s25, v84, v28
	v_lshrrev_b32_e32 v85, 16, v34
	v_mul_f16_e32 v86, 0xb3a8, v61
	v_pk_add_f16 v52, v49, v33
	v_fma_f16 v33, v85, s17, v86
	v_mul_f16_sdwa v49, v62, s21 dst_sel:DWORD dst_unused:UNUSED_PAD src0_sel:WORD_1 src1_sel:DWORD
	s_mov_b32 s33, 0xb5acb9fd
	v_add_f16_e32 v50, v33, v50
	v_fma_f16 v33, v32, s14, -v49
	s_mov_b32 s34, 0x394ebb7b
	v_pk_mul_f16 v82, v32, s33
	v_add_f16_e32 v51, v33, v51
	v_pk_fma_f16 v33, v62, s34, v82 op_sel:[0,0,1] op_sel_hi:[1,1,0] neg_lo:[1,0,0] neg_hi:[1,0,0]
	v_pk_fma_f16 v87, v62, s34, v82 op_sel:[0,0,1] op_sel_hi:[1,1,0]
	v_bfi_b32 v82, s25, v87, v33
	v_lshrrev_b32_e32 v88, 16, v32
	v_mul_f16_e32 v89, 0x394e, v62
	v_pk_add_f16 v52, v82, v52
	v_fma_f16 v82, v88, s16, v89
	v_add_f16_e32 v82, v82, v50
	v_mul_f16_sdwa v50, v63, s20 dst_sel:DWORD dst_unused:UNUSED_PAD src0_sel:WORD_1 src1_sel:DWORD
	s_mov_b32 s33, 0xb9fd2fb7
	v_fma_f16 v90, v30, s16, -v50
	s_mov_b32 s34, 0x3bf1b94e
	v_pk_mul_f16 v91, v30, s33
	v_add_f16_e32 v90, v90, v51
	v_pk_fma_f16 v51, v63, s34, v91 op_sel:[0,0,1] op_sel_hi:[1,1,0] neg_lo:[1,0,0] neg_hi:[1,0,0]
	v_pk_fma_f16 v91, v63, s34, v91 op_sel:[0,0,1] op_sel_hi:[1,1,0]
	v_bfi_b32 v92, s25, v91, v51
	v_lshrrev_b32_e32 v93, 16, v30
	v_mul_f16_e32 v94, 0x3bf1, v63
	v_pk_add_f16 v92, v92, v52
	v_fma_f16 v52, v93, s13, v94
	v_pk_add_f16 v95, v25, v26 neg_lo:[0,1] neg_hi:[0,1]
	v_add_f16_e32 v82, v52, v82
	v_pk_add_f16 v52, v26, v25
	v_mul_f16_sdwa v25, v95, s19 dst_sel:DWORD dst_unused:UNUSED_PAD src0_sel:WORD_1 src1_sel:DWORD
	s_mov_b32 s34, 0xbbc43b15
	v_fma_f16 v26, v52, s17, -v25
	s_mov_b32 s33, 0x3770b3a8
	v_pk_mul_f16 v96, v52, s34
	v_add_f16_e32 v90, v26, v90
	v_pk_fma_f16 v26, v95, s33, v96 op_sel:[0,0,1] op_sel_hi:[1,1,0] neg_lo:[1,0,0] neg_hi:[1,0,0]
	v_pk_fma_f16 v97, v95, s33, v96 op_sel:[0,0,1] op_sel_hi:[1,1,0]
	v_bfi_b32 v97, s25, v97, v26
	v_pk_add_f16 v92, v97, v92
	v_lshrrev_b32_e32 v97, 16, v52
	v_mul_f16_e32 v98, 0x3770, v95
	v_fma_f16 v99, v97, s18, v98
	v_add_f16_e32 v82, v99, v82
	v_alignbit_b32 v99, v82, v92, 16
	v_mul_lo_u16_e32 v82, 13, v79
	v_pack_b32_f16 v90, v90, v92
	v_lshlrev_b32_e32 v82, 2, v82
	s_barrier
	ds_write2_b32 v82, v90, v99 offset0:1 offset1:2
	v_mul_f16_sdwa v90, v55, s22 dst_sel:DWORD dst_unused:UNUSED_PAD src0_sel:WORD_1 src1_sel:DWORD
	v_fma_f16 v92, v54, s13, -v90
	v_mul_f16_sdwa v99, v60, s19 dst_sel:DWORD dst_unused:UNUSED_PAD src0_sel:WORD_1 src1_sel:DWORD
	v_add_f16_e32 v92, v23, v92
	v_fma_f16 v100, v24, s17, -v99
	v_add_f16_e32 v92, v100, v92
	v_mul_f16_e32 v100, 0xbbf1, v55
	v_fma_f16 v101, v59, s13, v100
	v_mul_f16_e32 v102, 0xb3a8, v60
	v_add_f16_sdwa v101, v23, v101 dst_sel:DWORD dst_unused:UNUSED_PAD src0_sel:WORD_1 src1_sel:DWORD
	v_fma_f16 v103, v66, s17, v102
	v_add_f16_e32 v101, v103, v101
	v_mul_f16_sdwa v103, v55, s21 dst_sel:DWORD dst_unused:UNUSED_PAD src0_sel:WORD_1 src1_sel:DWORD
	v_fma_f16 v104, v54, s14, -v103
	v_mul_f16_sdwa v105, v60, s28 dst_sel:DWORD dst_unused:UNUSED_PAD src0_sel:WORD_1 src1_sel:DWORD
	v_add_f16_e32 v104, v23, v104
	v_fma_f16 v106, v24, s16, -v105
	v_add_f16_e32 v104, v106, v104
	v_mul_f16_e32 v106, 0xbb7b, v55
	v_fma_f16 v107, v59, s14, v106
	v_mul_f16_e32 v108, 0x394e, v60
	v_add_f16_sdwa v107, v23, v107 dst_sel:DWORD dst_unused:UNUSED_PAD src0_sel:WORD_1 src1_sel:DWORD
	v_fma_f16 v109, v66, s16, v108
	v_add_f16_e32 v107, v109, v107
	v_mul_f16_sdwa v109, v61, s29 dst_sel:DWORD dst_unused:UNUSED_PAD src0_sel:WORD_1 src1_sel:DWORD
	v_fma_f16 v110, v34, s14, -v109
	v_add_f16_e32 v92, v110, v92
	v_mul_f16_e32 v110, 0x3b7b, v61
	v_fma_f16 v111, v85, s14, v110
	v_add_f16_e32 v101, v111, v101
	v_mul_f16_sdwa v111, v61, s27 dst_sel:DWORD dst_unused:UNUSED_PAD src0_sel:WORD_1 src1_sel:DWORD
	v_fma_f16 v112, v34, s18, -v111
	v_add_f16_e32 v104, v112, v104
	v_mul_f16_e32 v112, 0x3770, v61
	;; [unrolled: 6-line block ×8, first 2 shown]
	v_fma_f16 v125, v97, s12, v124
	v_add_f16_e32 v107, v125, v107
	v_pack_b32_f16 v104, v104, v107
	v_pack_b32_f16 v92, v92, v101
	v_pk_add_f16 v46, v53, v46
	v_mul_f16_sdwa v53, v55, s20 dst_sel:DWORD dst_unused:UNUSED_PAD src0_sel:WORD_1 src1_sel:DWORD
	ds_write2_b32 v82, v92, v104 offset0:3 offset1:4
	v_fma_f16 v92, v54, s16, -v53
	v_mul_f16_sdwa v101, v60, s26 dst_sel:DWORD dst_unused:UNUSED_PAD src0_sel:WORD_1 src1_sel:DWORD
	v_add_f16_e32 v92, v23, v92
	v_fma_f16 v104, v24, s13, -v101
	v_add_f16_e32 v92, v104, v92
	v_mul_f16_e32 v104, 0xb94e, v55
	v_fma_f16 v107, v59, s16, v104
	v_mul_f16_e32 v125, 0x3bf1, v60
	v_add_f16_sdwa v107, v23, v107 dst_sel:DWORD dst_unused:UNUSED_PAD src0_sel:WORD_1 src1_sel:DWORD
	v_fma_f16 v126, v66, s13, v125
	v_add_f16_e32 v107, v126, v107
	v_mul_f16_sdwa v126, v61, s24 dst_sel:DWORD dst_unused:UNUSED_PAD src0_sel:WORD_1 src1_sel:DWORD
	v_fma_f16 v127, v34, s12, -v126
	v_add_f16_e32 v92, v127, v92
	v_mul_f16_e32 v127, 0xba95, v61
	v_fma_f16 v128, v85, s12, v127
	v_add_f16_e32 v107, v128, v107
	v_mul_f16_sdwa v128, v62, s31 dst_sel:DWORD dst_unused:UNUSED_PAD src0_sel:WORD_1 src1_sel:DWORD
	v_fma_f16 v129, v32, s17, -v128
	v_add_f16_e32 v92, v129, v92
	v_mul_f16_e32 v129, 0x33a8, v62
	v_fma_f16 v130, v88, s17, v129
	v_add_f16_e32 v107, v130, v107
	v_mul_f16_sdwa v130, v63, s27 dst_sel:DWORD dst_unused:UNUSED_PAD src0_sel:WORD_1 src1_sel:DWORD
	v_fma_f16 v131, v30, s18, -v130
	v_add_f16_e32 v92, v131, v92
	v_mul_f16_e32 v131, 0x3770, v63
	v_fma_f16 v132, v93, s18, v131
	v_add_f16_e32 v107, v132, v107
	v_mul_f16_sdwa v132, v95, s21 dst_sel:DWORD dst_unused:UNUSED_PAD src0_sel:WORD_1 src1_sel:DWORD
	v_fma_f16 v133, v52, s14, -v132
	v_add_f16_e32 v92, v133, v92
	v_mul_f16_e32 v133, 0xbb7b, v95
	v_fma_f16 v134, v97, s14, v133
	v_add_f16_e32 v107, v134, v107
	v_pack_b32_f16 v92, v92, v107
	ds_write2_b32 v82, v46, v92 offset1:5
	v_fma_f16 v46, v59, s12, -v65
	v_fma_f16 v65, v59, s13, -v100
	v_fma_f16 v56, v54, s18, v56
	v_fma_f16 v90, v54, s13, v90
	;; [unrolled: 1-line block ×4, first 2 shown]
	v_pk_mul_f16 v54, v54, s17 op_sel_hi:[1,0]
	v_fma_f16 v92, v59, s14, -v106
	v_fma_f16 v59, v59, s16, -v104
	v_pk_fma_f16 v103, v55, s19, v54 op_sel:[0,0,1] op_sel_hi:[1,0,0] neg_lo:[1,0,0] neg_hi:[1,0,0]
	v_pk_fma_f16 v54, v55, s19, v54 op_sel:[0,0,1] op_sel_hi:[1,0,0]
	v_add_f16_e32 v104, v23, v56
	v_pk_add_f16 v55, v23, v58 op_sel:[1,0] op_sel_hi:[0,1]
	v_add_f16_sdwa v46, v23, v46 dst_sel:DWORD dst_unused:UNUSED_PAD src0_sel:WORD_1 src1_sel:DWORD
	v_add_f16_e32 v56, v23, v90
	v_add_f16_sdwa v58, v23, v65 dst_sel:DWORD dst_unused:UNUSED_PAD src0_sel:WORD_1 src1_sel:DWORD
	v_add_f16_e32 v65, v23, v100
	;; [unrolled: 2-line block ×3, first 2 shown]
	v_add_f16_sdwa v59, v23, v59 dst_sel:DWORD dst_unused:UNUSED_PAD src0_sel:WORD_1 src1_sel:DWORD
	v_add_f16_sdwa v106, v23, v57 dst_sel:DWORD dst_unused:UNUSED_PAD src0_sel:WORD_1 src1_sel:DWORD
	v_pk_add_f16 v57, v23, v103 op_sel:[1,0] op_sel_hi:[0,1]
	v_pk_add_f16 v23, v23, v54 op_sel:[1,0] op_sel_hi:[0,1]
	v_pk_mul_f16 v54, v24, s18 op_sel_hi:[1,0]
	v_pk_fma_f16 v92, v60, s27, v54 op_sel:[0,0,1] op_sel_hi:[1,0,0] neg_lo:[1,0,0] neg_hi:[1,0,0]
	v_pk_fma_f16 v54, v60, s27, v54 op_sel:[0,0,1] op_sel_hi:[1,0,0]
	v_pk_add_f16 v23, v54, v23
	v_pk_mul_f16 v54, v34, s16 op_sel_hi:[1,0]
	v_pk_fma_f16 v60, v61, s20, v54 op_sel:[0,0,1] op_sel_hi:[1,0,0] neg_lo:[1,0,0] neg_hi:[1,0,0]
	v_pk_fma_f16 v54, v61, s20, v54 op_sel:[0,0,1] op_sel_hi:[1,0,0]
	v_pk_add_f16 v57, v92, v57
	v_pk_add_f16 v23, v54, v23
	v_pk_mul_f16 v54, v32, s12 op_sel_hi:[1,0]
	v_pk_add_f16 v57, v60, v57
	v_pk_fma_f16 v60, v62, s30, v54 op_sel:[0,0,1] op_sel_hi:[1,0,0] neg_lo:[1,0,0] neg_hi:[1,0,0]
	v_pk_fma_f16 v54, v62, s30, v54 op_sel:[0,0,1] op_sel_hi:[1,0,0]
	v_pk_add_f16 v23, v54, v23
	v_pk_mul_f16 v54, v30, s14 op_sel_hi:[1,0]
	v_pk_add_f16 v57, v60, v57
	v_pk_fma_f16 v60, v63, s21, v54 op_sel:[0,0,1] op_sel_hi:[1,0,0] neg_lo:[1,0,0] neg_hi:[1,0,0]
	v_pk_fma_f16 v54, v63, s21, v54 op_sel:[0,0,1] op_sel_hi:[1,0,0]
	;; [unrolled: 5-line block ×3, first 2 shown]
	v_pk_add_f16 v57, v60, v57
	v_pk_add_f16 v23, v54, v23
	v_alignbit_b32 v54, v57, v23, 16
	v_alignbit_b32 v23, v23, v57, 16
	v_fma_f16 v57, v24, s13, v101
	ds_write2_b32 v82, v23, v54 offset0:6 offset1:7
	v_fma_f16 v23, v24, s16, v105
	v_add_f16_e32 v53, v57, v53
	v_fma_f16 v57, v66, s13, -v125
	v_add_f16_e32 v23, v23, v65
	v_fma_f16 v54, v66, s16, -v108
	v_add_f16_e32 v57, v57, v59
	v_fma_f16 v59, v34, s18, v111
	v_add_f16_e32 v54, v54, v90
	v_add_f16_e32 v23, v59, v23
	v_fma_f16 v59, v85, s18, -v112
	v_add_f16_e32 v54, v59, v54
	v_fma_f16 v59, v34, s12, v126
	v_add_f16_e32 v53, v59, v53
	v_fma_f16 v59, v85, s12, -v127
	v_add_f16_e32 v57, v59, v57
	v_fma_f16 v59, v32, s13, v115
	;; [unrolled: 4-line block ×7, first 2 shown]
	v_add_f16_e32 v53, v59, v53
	v_fma_f16 v59, v97, s14, -v133
	v_add_f16_e32 v57, v59, v57
	v_pack_b32_f16 v23, v23, v54
	v_pack_b32_f16 v53, v53, v57
	ds_write2_b32 v82, v53, v23 offset0:8 offset1:9
	v_fma_f16 v53, v66, s14, -v83
	v_pk_add_f16 v23, v64, v55
	v_add_f16_e32 v46, v53, v46
	v_fma_f16 v53, v24, s17, v99
	v_fma_f16 v55, v85, s17, -v86
	v_add_f16_e32 v53, v53, v56
	v_fma_f16 v54, v66, s17, -v102
	v_add_f16_e32 v46, v55, v46
	v_fma_f16 v55, v34, s14, v109
	v_add_f16_e32 v54, v54, v58
	v_add_f16_e32 v53, v55, v53
	v_fma_f16 v55, v85, s14, -v110
	v_add_f16_e32 v54, v55, v54
	v_fma_f16 v55, v88, s16, -v89
	v_add_f16_e32 v46, v55, v46
	v_fma_f16 v55, v32, s18, v113
	v_add_f16_e32 v53, v55, v53
	v_fma_f16 v55, v88, s18, -v114
	v_add_f16_e32 v54, v55, v54
	v_fma_f16 v55, v93, s13, -v94
	v_add_f16_e32 v46, v55, v46
	v_fma_f16 v55, v30, s12, v117
	v_fma_f16 v56, v97, s18, -v98
	v_add_f16_e32 v53, v55, v53
	v_add_f16_e32 v46, v56, v46
	v_fma_f16 v56, v52, s16, v121
	v_pk_add_f16 v23, v84, v23
	v_add_f16_e32 v53, v56, v53
	v_pk_mul_f16 v56, v95, s33
	v_pk_add_f16 v23, v87, v23
	v_bfi_b32 v54, s25, v54, v56
	v_mul_f16_e32 v56, 0xb94e, v95
	v_fma_f16 v55, v93, s12, -v118
	v_bfi_b32 v56, s25, v56, v23
	v_pack_b32_f16 v55, v55, v96
	v_pk_add_f16 v56, v122, v56 neg_lo:[0,1] neg_hi:[0,1]
	v_pk_add_f16 v23, v91, v23
	v_pk_add_f16 v54, v55, v54
	v_bfi_b32 v23, s25, v56, v23
	v_pk_add_f16 v23, v23, v54
	v_alignbit_b32 v46, v46, v23, 16
	v_pack_b32_f16 v23, v53, v23
	v_lshrrev_b32_e32 v55, 16, v36
	ds_write2_b32 v82, v23, v46 offset0:10 offset1:11
	v_mul_f16_e32 v23, 0xb94e, v40
	v_mul_f16_e32 v57, 0xba95, v40
	;; [unrolled: 1-line block ×4, first 2 shown]
	v_fma_f16 v60, v55, s16, v23
	v_fma_f16 v61, v55, s16, -v23
	v_mul_f16_e32 v23, 0xb3a8, v40
	v_mul_f16_sdwa v46, v40, s23 dst_sel:DWORD dst_unused:UNUSED_PAD src0_sel:WORD_1 src1_sel:DWORD
	v_fma_f16 v58, v55, s12, v57
	v_fma_f16 v57, v55, s12, -v57
	v_fma_f16 v54, v55, s13, v56
	v_fma_f16 v56, v55, s13, -v56
	;; [unrolled: 2-line block ×4, first 2 shown]
	v_fma_f16 v23, v36, s18, v46
	v_add_f16_e32 v63, v23, v0
	v_mul_f16_sdwa v23, v41, s24 dst_sel:DWORD dst_unused:UNUSED_PAD src0_sel:WORD_1 src1_sel:DWORD
	v_fma_f16 v64, v37, s12, v23
	v_add_f16_e32 v63, v64, v63
	v_lshrrev_b32_e32 v64, 16, v37
	v_mul_f16_e32 v65, 0xbb7b, v41
	v_fma_f16 v66, v64, s14, v65
	v_fma_f16 v65, v64, s14, -v65
	v_add_f16_sdwa v57, v57, v0 dst_sel:DWORD dst_unused:UNUSED_PAD src0_sel:DWORD src1_sel:WORD_1
	v_add_f16_sdwa v58, v58, v0 dst_sel:DWORD dst_unused:UNUSED_PAD src0_sel:DWORD src1_sel:WORD_1
	v_add_f16_e32 v57, v65, v57
	v_mul_f16_e32 v65, 0xb3a8, v41
	v_add_f16_e32 v58, v66, v58
	v_add_f16_sdwa v54, v54, v0 dst_sel:DWORD dst_unused:UNUSED_PAD src0_sel:DWORD src1_sel:WORD_1
	v_fma_f16 v66, v64, s17, v65
	v_add_f16_e32 v66, v66, v54
	v_fma_f16 v54, v64, s17, -v65
	v_add_f16_sdwa v56, v56, v0 dst_sel:DWORD dst_unused:UNUSED_PAD src0_sel:DWORD src1_sel:WORD_1
	v_add_f16_e32 v56, v54, v56
	v_add_f16_sdwa v54, v59, v0 dst_sel:DWORD dst_unused:UNUSED_PAD src0_sel:DWORD src1_sel:WORD_1
	v_mul_f16_e32 v59, 0x394e, v41
	v_fma_f16 v65, v64, s16, v59
	v_add_f16_e32 v65, v65, v54
	v_fma_f16 v54, v64, s16, -v59
	v_add_f16_sdwa v53, v53, v0 dst_sel:DWORD dst_unused:UNUSED_PAD src0_sel:DWORD src1_sel:WORD_1
	v_add_f16_e32 v59, v54, v53
	v_mul_f16_e32 v54, 0x3bf1, v41
	v_add_f16_sdwa v53, v60, v0 dst_sel:DWORD dst_unused:UNUSED_PAD src0_sel:DWORD src1_sel:WORD_1
	v_fma_f16 v60, v64, s13, v54
	v_add_f16_e32 v60, v60, v53
	v_fma_f16 v53, v64, s13, -v54
	v_add_f16_sdwa v54, v61, v0 dst_sel:DWORD dst_unused:UNUSED_PAD src0_sel:DWORD src1_sel:WORD_1
	s_mov_b32 s24, 0xb3a8b770
	v_add_f16_e32 v61, v53, v54
	s_mov_b32 s23, 0x3b15bbc4
	v_pk_mul_f16 v53, v40, s24
	s_mov_b32 s26, 0x3770ba95
	v_pk_fma_f16 v40, v36, s23, v53 op_sel:[0,0,1] op_sel_hi:[1,1,0] neg_lo:[0,0,1] neg_hi:[0,0,1]
	s_mov_b32 s24, 0x388b3b15
	v_pk_mul_f16 v54, v41, s26
	v_pk_add_f16 v40, v40, v0
	v_pk_fma_f16 v83, v37, s24, v54 op_sel:[0,0,1] op_sel_hi:[1,1,0] neg_lo:[0,0,1] neg_hi:[0,0,1]
	v_mul_f16_e32 v93, 0x3770, v41
	v_pk_add_f16 v83, v83, v40
	v_add_f16_sdwa v40, v55, v0 dst_sel:DWORD dst_unused:UNUSED_PAD src0_sel:DWORD src1_sel:WORD_1
	v_fma_f16 v41, v64, s18, -v93
	v_add_f16_e32 v41, v41, v40
	v_mul_f16_sdwa v40, v42, s22 dst_sel:DWORD dst_unused:UNUSED_PAD src0_sel:WORD_1 src1_sel:DWORD
	v_fma_f16 v55, v38, s13, v40
	v_add_f16_e32 v63, v55, v63
	v_lshrrev_b32_e32 v94, 16, v38
	v_mul_f16_e32 v55, 0xb3a8, v42
	v_fma_f16 v84, v94, s17, v55
	v_fma_f16 v55, v94, s17, -v55
	v_add_f16_e32 v57, v55, v57
	v_mul_f16_e32 v55, 0x3b7b, v42
	v_add_f16_e32 v58, v84, v58
	v_fma_f16 v84, v94, s14, v55
	v_fma_f16 v55, v94, s14, -v55
	v_add_f16_e32 v56, v55, v56
	v_mul_f16_e32 v55, 0x3770, v42
	v_add_f16_e32 v66, v84, v66
	;; [unrolled: 5-line block ×3, first 2 shown]
	v_fma_f16 v84, v94, s12, v55
	v_fma_f16 v55, v94, s12, -v55
	s_mov_b32 s26, 0xb94ebbf1
	v_mul_f16_e32 v96, 0xb94e, v42
	v_add_f16_e32 v61, v55, v61
	s_mov_b32 s22, 0x2fb7b9fd
	v_pk_mul_f16 v55, v42, s26
	v_fma_f16 v42, v94, s16, -v96
	v_add_f16_e32 v60, v84, v60
	v_pk_fma_f16 v84, v38, s22, v55 op_sel:[0,0,1] op_sel_hi:[1,1,0] neg_lo:[0,0,1] neg_hi:[0,0,1]
	v_add_f16_e32 v42, v42, v41
	v_mul_f16_sdwa v41, v43, s21 dst_sel:DWORD dst_unused:UNUSED_PAD src0_sel:WORD_1 src1_sel:DWORD
	v_pk_add_f16 v83, v84, v83
	v_fma_f16 v84, v39, s14, v41
	v_add_f16_e32 v63, v84, v63
	v_lshrrev_b32_e32 v97, 16, v39
	v_mul_f16_e32 v84, 0x394e, v43
	v_fma_f16 v85, v97, s16, v84
	v_fma_f16 v84, v97, s16, -v84
	v_add_f16_e32 v57, v84, v57
	v_mul_f16_e32 v84, 0x3770, v43
	v_add_f16_e32 v58, v85, v58
	v_fma_f16 v85, v97, s18, v84
	v_fma_f16 v84, v97, s18, -v84
	v_add_f16_e32 v84, v84, v56
	v_mul_f16_e32 v56, 0xbbf1, v43
	v_add_f16_e32 v66, v85, v66
	;; [unrolled: 5-line block ×3, first 2 shown]
	v_fma_f16 v85, v97, s17, v56
	v_fma_f16 v56, v97, s17, -v56
	s_mov_b32 s26, 0x3a95bb7b
	v_mul_f16_e32 v98, 0x3a95, v43
	v_add_f16_e32 v61, v56, v61
	s_mov_b32 s21, 0xb5ac388b
	v_pk_mul_f16 v56, v43, s26
	v_fma_f16 v43, v97, s12, -v98
	v_add_f16_e32 v60, v85, v60
	v_pk_fma_f16 v85, v39, s21, v56 op_sel:[0,0,1] op_sel_hi:[1,1,0] neg_lo:[0,0,1] neg_hi:[0,0,1]
	v_add_f16_e32 v43, v43, v42
	v_mul_f16_sdwa v42, v48, s20 dst_sel:DWORD dst_unused:UNUSED_PAD src0_sel:WORD_1 src1_sel:DWORD
	v_pk_add_f16 v83, v85, v83
	v_fma_f16 v85, v44, s16, v42
	v_add_f16_e32 v63, v85, v63
	v_lshrrev_b32_e32 v99, 16, v44
	v_mul_f16_e32 v85, 0x3bf1, v48
	v_fma_f16 v86, v99, s13, v85
	v_fma_f16 v85, v99, s13, -v85
	v_add_f16_e32 v85, v85, v57
	v_mul_f16_e32 v57, 0xba95, v48
	v_add_f16_e32 v58, v86, v58
	v_fma_f16 v86, v99, s12, v57
	v_fma_f16 v57, v99, s12, -v57
	v_add_f16_e32 v66, v86, v66
	v_add_f16_e32 v86, v57, v84
	v_mul_f16_e32 v57, 0x33a8, v48
	v_fma_f16 v84, v99, s17, v57
	v_fma_f16 v57, v99, s17, -v57
	v_add_f16_e32 v59, v57, v59
	v_mul_f16_e32 v57, 0x3770, v48
	v_add_f16_e32 v65, v84, v65
	v_fma_f16 v84, v99, s18, v57
	v_fma_f16 v57, v99, s18, -v57
	s_mov_b32 s26, 0xbb7bb94e
	v_mul_f16_e32 v100, 0xbb7b, v48
	v_add_f16_e32 v61, v57, v61
	v_pk_mul_f16 v57, v48, s26
	v_fma_f16 v48, v99, s14, -v100
	v_add_f16_e32 v101, v48, v43
	v_mul_f16_sdwa v43, v47, s19 dst_sel:DWORD dst_unused:UNUSED_PAD src0_sel:WORD_1 src1_sel:DWORD
	s_mov_b32 s20, 0xb9fdb5ac
	v_fma_f16 v48, v45, s17, v43
	v_add_f16_e32 v60, v84, v60
	v_pk_fma_f16 v84, v44, s20, v57 op_sel:[0,0,1] op_sel_hi:[1,1,0] neg_lo:[0,0,1] neg_hi:[0,0,1]
	v_add_f16_e32 v89, v48, v63
	v_lshrrev_b32_e32 v63, 16, v45
	v_mul_f16_e32 v48, 0x3770, v47
	v_pk_add_f16 v83, v84, v83
	v_fma_f16 v84, v63, s18, v48
	v_fma_f16 v48, v63, s18, -v48
	v_add_f16_e32 v88, v48, v85
	v_mul_f16_e32 v48, 0xb94e, v47
	v_add_f16_e32 v84, v84, v58
	v_fma_f16 v58, v63, s16, v48
	v_fma_f16 v48, v63, s16, -v48
	v_add_f16_e32 v90, v48, v86
	v_mul_f16_e32 v48, 0x3a95, v47
	v_add_f16_e32 v85, v58, v66
	;; [unrolled: 5-line block ×3, first 2 shown]
	v_fma_f16 v58, v63, s14, v48
	v_fma_f16 v48, v63, s14, -v48
	s_mov_b32 s18, 0x3bf1b3a8
	v_add_f16_e32 v91, v48, v61
	s_mov_b32 s19, 0xbbc42fb7
	v_pk_mul_f16 v48, v47, s18
	v_add_f16_e32 v87, v58, v60
	v_pk_fma_f16 v58, v45, s19, v48 op_sel:[0,0,1] op_sel_hi:[1,1,0] neg_lo:[0,0,1] neg_hi:[0,0,1]
	v_pk_add_f16 v95, v58, v83
	v_pk_fma_f16 v58, v36, s23, v53 op_sel:[0,0,1] op_sel_hi:[1,1,0]
	v_mul_f16_e32 v59, 0x3b15, v64
	s_mov_b32 s18, 0x5040100
	v_pack_b32_f16 v58, v93, v58
	v_perm_b32 v59, v0, v59, s18
	v_pk_add_f16 v59, v58, v59
	v_pk_mul_f16 v58, v37, s24
	s_mov_b32 s24, 0x7060302
	v_pack_b32_f16 v60, v62, v58
	v_perm_b32 v61, v54, v0, s24
	v_pk_add_f16 v60, v60, v61
	v_pk_add_f16 v60, v60, v59
	v_mul_f16_e32 v61, 0xb9fd, v94
	v_pk_mul_f16 v59, v38, s22
	v_pack_b32_f16 v62, v96, v59
	v_bfi_b32 v61, s25, v61, v55
	v_pk_add_f16 v61, v62, v61
	v_pk_add_f16 v61, v61, v60
	v_mul_f16_e32 v62, 0x388b, v97
	v_pk_mul_f16 v60, v39, s21
	v_pack_b32_f16 v64, v98, v60
	v_bfi_b32 v62, s25, v62, v56
	v_fma_f16 v24, v24, s12, v31
	v_pk_add_f16 v62, v64, v62
	v_add_f16_e32 v24, v24, v104
	v_fma_f16 v29, v34, s13, v29
	v_pk_add_f16 v62, v62, v61
	v_mul_f16_e32 v64, 0xb5ac, v99
	v_pk_mul_f16 v61, v44, s20
	v_add_f16_e32 v24, v29, v24
	v_fma_f16 v29, v32, s14, v49
	v_pack_b32_f16 v65, v100, v61
	v_bfi_b32 v64, s25, v64, v57
	v_add_f16_e32 v24, v29, v24
	v_fma_f16 v29, v30, s16, v50
	v_pk_add_f16 v64, v65, v64
	v_add_f16_e32 v24, v29, v24
	v_fma_f16 v25, v52, s17, v25
	v_pk_add_f16 v62, v64, v62
	v_mul_f16_e32 v64, 0x3bf1, v47
	v_mul_f16_e32 v47, 0x2fb7, v63
	v_add_f16_e32 v24, v25, v24
	v_add_f16_e32 v25, v27, v106
	v_bfi_b32 v65, s25, v47, v48
	v_pk_mul_f16 v47, v45, s19
	v_add_f16_e32 v25, v28, v25
	v_pack_b32_f16 v66, v64, v47
	v_add_f16_e32 v25, v33, v25
	v_pk_add_f16 v65, v66, v65
	v_add_f16_e32 v25, v51, v25
	s_movk_i32 s14, 0x75
	v_pk_add_f16 v99, v65, v62
	v_fma_f16 v62, v63, s13, -v64
	v_add_f16_e32 v25, v26, v25
	v_add_co_u32_e32 v51, vcc, s14, v79
	v_add_f16_e32 v100, v62, v101
	v_pack_b32_f16 v24, v24, v25
	v_mul_u32_u24_e32 v83, 13, v51
	ds_write_b32 v82, v24 offset:48
	s_and_saveexec_b64 s[12:13], s[0:1]
	s_cbranch_execz .LBB0_7
; %bb.6:
	v_pk_add_f16 v1, v1, v0
	v_mul_f16_e32 v25, 0x388b, v37
	v_alignbit_b32 v32, v54, v54, 16
	v_bfi_b32 v23, s25, v23, v58
	v_pk_add_f16 v1, v6, v1
	v_pk_mul_f16 v30, v36, s23
	v_pk_add_f16 v23, v25, v23 neg_lo:[0,1] neg_hi:[0,1]
	v_pk_add_f16 v25, v32, v58
	v_pk_add_f16 v1, v7, v1
	v_mul_f16_e32 v24, 0x3b15, v36
	v_mul_f16_e32 v26, 0x2fb7, v38
	v_alignbit_b32 v31, v53, v53, 16
	v_alignbit_b32 v33, v55, v55, 16
	v_bfi_b32 v38, s25, v46, v30
	v_bfi_b32 v23, s25, v23, v25
	v_bfi_b32 v25, s25, v40, v59
	v_pk_add_f16 v1, v4, v1
	v_pk_add_f16 v24, v24, v38 neg_lo:[0,1] neg_hi:[0,1]
	v_pk_add_f16 v30, v31, v30
	v_pk_add_f16 v25, v26, v25 neg_lo:[0,1] neg_hi:[0,1]
	v_pk_add_f16 v26, v33, v59
	v_pk_add_f16 v1, v5, v1
	v_mul_f16_e32 v27, 0xb5ac, v39
	v_alignbit_b32 v34, v56, v56, 16
	v_bfi_b32 v24, s25, v24, v30
	v_bfi_b32 v25, s25, v25, v26
	;; [unrolled: 1-line block ×3, first 2 shown]
	v_pk_add_f16 v1, v2, v1
	v_pk_add_f16 v26, v27, v26 neg_lo:[0,1] neg_hi:[0,1]
	v_pk_add_f16 v27, v34, v60
	v_pk_add_f16 v1, v3, v1
	;; [unrolled: 1-line block ×3, first 2 shown]
	v_mul_f16_e32 v28, 0xb9fd, v44
	v_alignbit_b32 v36, v57, v57, 16
	v_bfi_b32 v26, s25, v26, v27
	v_bfi_b32 v27, s25, v42, v61
	v_pk_add_f16 v1, v8, v1
	v_pk_add_f16 v0, v23, v0
	v_mul_f16_e32 v29, 0xbbc4, v45
	v_alignbit_b32 v37, v48, v48, 16
	v_pk_add_f16 v27, v28, v27 neg_lo:[0,1] neg_hi:[0,1]
	v_pk_add_f16 v28, v36, v61
	v_pk_add_f16 v1, v9, v1
	v_pk_add_f16 v0, v25, v0
	v_bfi_b32 v2, s25, v43, v47
	v_bfi_b32 v27, s25, v27, v28
	v_pk_add_f16 v1, v10, v1
	v_pk_add_f16 v0, v26, v0
	v_pk_add_f16 v2, v29, v2 neg_lo:[0,1] neg_hi:[0,1]
	v_pk_add_f16 v3, v37, v47
	v_pk_add_f16 v1, v11, v1
	;; [unrolled: 1-line block ×3, first 2 shown]
	v_bfi_b32 v2, s25, v2, v3
	v_lshlrev_b32_e32 v28, 2, v83
	v_pk_add_f16 v1, v35, v1
	v_pk_add_f16 v0, v2, v0
	ds_write2_b32 v28, v1, v0 offset1:1
	v_perm_b32 v0, v85, v16, s18
	v_perm_b32 v1, v84, v15, s18
	ds_write2_b32 v28, v1, v0 offset0:2 offset1:3
	v_perm_b32 v0, v87, v18, s18
	v_perm_b32 v1, v86, v17, s18
	ds_write2_b32 v28, v1, v0 offset0:4 offset1:5
	v_perm_b32 v0, v99, v95, s18
	v_alignbit_b32 v1, v100, v99, 16
	ds_write2_b32 v28, v0, v1 offset0:6 offset1:7
	v_perm_b32 v0, v92, v22, s18
	v_perm_b32 v1, v91, v21, s18
	ds_write2_b32 v28, v1, v0 offset0:8 offset1:9
	v_perm_b32 v0, v88, v20, s18
	v_perm_b32 v1, v90, v19, s18
	ds_write2_b32 v28, v1, v0 offset0:10 offset1:11
	v_bfi_b32 v0, s25, v89, v95
	ds_write_b32 v28, v0 offset:48
.LBB0_7:
	s_or_b64 exec, exec, s[12:13]
	s_movk_i32 s12, 0x4f
	v_mul_lo_u16_sdwa v0, v79, s12 dst_sel:DWORD dst_unused:UNUSED_PAD src0_sel:BYTE_0 src1_sel:DWORD
	v_lshrrev_b16_e32 v11, 10, v0
	v_mul_lo_u16_e32 v0, 13, v11
	v_sub_u16_e32 v0, v79, v0
	v_mul_lo_u16_sdwa v1, v51, s12 dst_sel:DWORD dst_unused:UNUSED_PAD src0_sel:BYTE_0 src1_sel:DWORD
	v_and_b32_e32 v39, 0xff, v0
	v_lshrrev_b16_e32 v40, 10, v1
	v_lshlrev_b32_e32 v0, 3, v39
	v_mul_lo_u16_e32 v1, 13, v40
	s_waitcnt lgkmcnt(0)
	s_barrier
	global_load_dwordx2 v[25:26], v0, s[4:5]
	v_sub_u16_e32 v0, v51, v1
	v_and_b32_e32 v41, 0xff, v0
	s_movk_i32 s12, 0xea
	v_lshlrev_b32_e32 v0, 3, v41
	v_add_co_u32_e32 v8, vcc, s12, v79
	s_movk_i32 s12, 0x4ec5
	global_load_dwordx2 v[23:24], v0, s[4:5]
	v_mul_u32_u24_sdwa v0, v8, s12 dst_sel:DWORD dst_unused:UNUSED_PAD src0_sel:WORD_0 src1_sel:DWORD
	v_lshrrev_b32_e32 v42, 18, v0
	v_mul_lo_u16_e32 v0, 13, v42
	v_sub_u16_e32 v43, v8, v0
	v_lshlrev_b16_e32 v0, 1, v43
	v_lshlrev_b32_e32 v0, 2, v0
	v_add_u32_e32 v1, 0x15f, v79
	global_load_dwordx2 v[27:28], v0, s[4:5]
	v_mul_u32_u24_sdwa v0, v1, s12 dst_sel:DWORD dst_unused:UNUSED_PAD src0_sel:WORD_0 src1_sel:DWORD
	v_lshrrev_b32_e32 v44, 18, v0
	v_mul_lo_u16_e32 v0, 13, v44
	v_sub_u16_e32 v45, v1, v0
	v_lshlrev_b16_e32 v0, 1, v45
	v_lshlrev_b32_e32 v0, 2, v0
	global_load_dwordx2 v[29:30], v0, s[4:5]
	v_add_u32_e32 v0, 0x1d4, v79
	v_mul_u32_u24_sdwa v2, v0, s12 dst_sel:DWORD dst_unused:UNUSED_PAD src0_sel:WORD_0 src1_sel:DWORD
	v_lshrrev_b32_e32 v46, 18, v2
	v_mul_lo_u16_e32 v2, 13, v46
	v_sub_u16_e32 v47, v0, v2
	v_lshlrev_b16_e32 v2, 1, v47
	v_lshlrev_b32_e32 v2, 2, v2
	global_load_dwordx2 v[31:32], v2, s[4:5]
	ds_read2_b32 v[2:3], v67 offset1:117
	v_add_u32_e32 v56, 0x600, v67
	v_add_u32_e32 v55, 0x1200, v67
	;; [unrolled: 1-line block ×6, first 2 shown]
	ds_read_b32 v48, v67 offset:6552
	ds_read2_b32 v[4:5], v56 offset0:84 offset1:201
	ds_read2_b32 v[6:7], v55 offset0:18 offset1:135
	;; [unrolled: 1-line block ×6, first 2 shown]
	s_waitcnt lgkmcnt(5)
	v_lshrrev_b32_e32 v54, 16, v5
	s_waitcnt lgkmcnt(3)
	v_lshrrev_b32_e32 v63, 16, v10
	v_lshrrev_b32_e32 v59, 16, v6
	s_waitcnt lgkmcnt(1)
	v_lshrrev_b32_e32 v64, 16, v35
	s_waitcnt lgkmcnt(0)
	v_lshrrev_b32_e32 v93, 16, v37
	v_lshrrev_b32_e32 v94, 16, v36
	;; [unrolled: 1-line block ×7, first 2 shown]
	s_movk_i32 s12, 0x3aee
	s_mov_b32 s13, 0xbaee
	v_lshrrev_b32_e32 v50, 16, v3
	v_lshrrev_b32_e32 v62, 16, v33
	;; [unrolled: 1-line block ×3, first 2 shown]
	v_mul_u32_u24_e32 v11, 39, v11
	v_lshrrev_b32_e32 v96, 16, v4
	s_waitcnt vmcnt(0)
	s_barrier
	s_movk_i32 s16, 0xa5
	v_mul_f16_sdwa v98, v54, v25 dst_sel:DWORD dst_unused:UNUSED_PAD src0_sel:DWORD src1_sel:WORD_1
	v_mul_f16_sdwa v101, v5, v25 dst_sel:DWORD dst_unused:UNUSED_PAD src0_sel:DWORD src1_sel:WORD_1
	v_fma_f16 v5, v5, v25, -v98
	v_mul_f16_sdwa v102, v59, v26 dst_sel:DWORD dst_unused:UNUSED_PAD src0_sel:DWORD src1_sel:WORD_1
	v_mul_f16_sdwa v103, v6, v26 dst_sel:DWORD dst_unused:UNUSED_PAD src0_sel:DWORD src1_sel:WORD_1
	v_fma_f16 v6, v6, v26, -v102
	v_fma_f16 v54, v54, v25, v101
	v_fma_f16 v59, v59, v26, v103
	v_add_f16_e32 v101, v5, v6
	v_mul_f16_sdwa v104, v60, v23 dst_sel:DWORD dst_unused:UNUSED_PAD src0_sel:DWORD src1_sel:WORD_1
	v_mul_f16_sdwa v106, v61, v24 dst_sel:DWORD dst_unused:UNUSED_PAD src0_sel:DWORD src1_sel:WORD_1
	;; [unrolled: 1-line block ×4, first 2 shown]
	v_fma_f16 v9, v9, v23, -v104
	v_fma_f16 v7, v7, v24, -v106
	v_fma_f16 v60, v60, v23, v105
	v_mul_f16_sdwa v98, v63, v27 dst_sel:DWORD dst_unused:UNUSED_PAD src0_sel:DWORD src1_sel:WORD_1
	v_fma_f16 v98, v10, v27, -v98
	v_mul_f16_sdwa v10, v10, v27 dst_sel:DWORD dst_unused:UNUSED_PAD src0_sel:DWORD src1_sel:WORD_1
	v_fma_f16 v10, v63, v27, v10
	v_mul_f16_sdwa v63, v64, v28 dst_sel:DWORD dst_unused:UNUSED_PAD src0_sel:DWORD src1_sel:WORD_1
	v_fma_f16 v63, v35, v28, -v63
	v_mul_f16_sdwa v35, v35, v28 dst_sel:DWORD dst_unused:UNUSED_PAD src0_sel:DWORD src1_sel:WORD_1
	;; [unrolled: 4-line block ×6, first 2 shown]
	v_fma_f16 v48, v52, v32, v48
	v_add_f16_e32 v52, v2, v5
	v_fma_f16 v2, v101, -0.5, v2
	v_sub_f16_e32 v101, v54, v59
	v_fma_f16 v102, v101, s12, v2
	v_fma_f16 v2, v101, s13, v2
	v_add_f16_e32 v101, v49, v54
	v_add_f16_e32 v54, v54, v59
	v_fma_f16 v61, v61, v24, v107
	v_fma_f16 v49, v54, -0.5, v49
	v_sub_f16_e32 v5, v5, v6
	v_add_f16_e32 v54, v9, v7
	v_add_f16_e32 v52, v52, v6
	v_fma_f16 v6, v5, s13, v49
	v_fma_f16 v5, v5, s12, v49
	v_add_f16_e32 v49, v3, v9
	v_fma_f16 v3, v54, -0.5, v3
	v_sub_f16_e32 v54, v60, v61
	v_add_f16_e32 v101, v101, v59
	v_fma_f16 v59, v54, s12, v3
	v_fma_f16 v3, v54, s13, v3
	v_add_f16_e32 v54, v50, v60
	v_add_f16_e32 v60, v60, v61
	v_add_f16_e32 v49, v49, v7
	v_fma_f16 v50, v60, -0.5, v50
	v_sub_f16_e32 v7, v9, v7
	v_add_f16_e32 v60, v98, v63
	v_fma_f16 v9, v7, s13, v50
	v_fma_f16 v7, v7, s12, v50
	v_add_f16_e32 v50, v33, v98
	v_fma_f16 v33, v60, -0.5, v33
	v_sub_f16_e32 v60, v10, v35
	v_add_f16_e32 v54, v54, v61
	v_fma_f16 v61, v60, s12, v33
	v_fma_f16 v33, v60, s13, v33
	v_add_f16_e32 v60, v62, v10
	v_add_f16_e32 v10, v10, v35
	;; [unrolled: 1-line block ×4, first 2 shown]
	v_fma_f16 v10, v10, -0.5, v62
	v_sub_f16_e32 v35, v98, v63
	v_add_f16_e32 v63, v64, v93
	v_fma_f16 v62, v35, s13, v10
	v_fma_f16 v10, v35, s12, v10
	v_add_f16_e32 v35, v34, v64
	v_fma_f16 v34, v63, -0.5, v34
	v_sub_f16_e32 v63, v37, v36
	v_fma_f16 v98, v63, s12, v34
	v_fma_f16 v34, v63, s13, v34
	v_add_f16_e32 v63, v66, v37
	v_add_f16_e32 v63, v63, v36
	;; [unrolled: 1-line block ×3, first 2 shown]
	v_fma_f16 v36, v36, -0.5, v66
	v_sub_f16_e32 v37, v64, v93
	v_add_f16_e32 v66, v94, v97
	v_add_f16_e32 v35, v35, v93
	v_fma_f16 v64, v37, s13, v36
	v_fma_f16 v36, v37, s12, v36
	v_add_f16_e32 v37, v4, v94
	v_fma_f16 v4, v66, -0.5, v4
	v_sub_f16_e32 v66, v38, v48
	v_add_lshl_u32 v93, v11, v39, 2
	v_pack_b32_f16 v2, v2, v5
	v_fma_f16 v103, v66, s12, v4
	v_fma_f16 v4, v66, s13, v4
	v_add_f16_e32 v66, v96, v38
	ds_write_b32 v93, v2 offset:104
	v_mul_u32_u24_e32 v2, 39, v40
	v_add_f16_e32 v66, v66, v48
	v_add_f16_e32 v38, v38, v48
	v_sub_f16_e32 v48, v94, v97
	v_pack_b32_f16 v11, v52, v101
	v_pack_b32_f16 v6, v102, v6
	v_add_lshl_u32 v94, v2, v41, 2
	v_pack_b32_f16 v2, v49, v54
	v_pack_b32_f16 v5, v59, v9
	ds_write2_b32 v93, v11, v6 offset1:13
	ds_write2_b32 v94, v2, v5 offset1:13
	v_pack_b32_f16 v2, v3, v7
	ds_write_b32 v94, v2 offset:104
	v_mad_legacy_u16 v2, v42, 39, v43
	v_fma_f16 v38, v38, -0.5, v96
	v_lshlrev_b32_e32 v96, 2, v2
	v_pack_b32_f16 v2, v50, v60
	v_pack_b32_f16 v3, v61, v62
	ds_write2_b32 v96, v2, v3 offset1:13
	v_pack_b32_f16 v2, v33, v10
	ds_write_b32 v96, v2 offset:104
	v_mad_legacy_u16 v2, v44, 39, v45
	v_add_f16_e32 v37, v37, v97
	v_lshlrev_b32_e32 v97, 2, v2
	v_pack_b32_f16 v2, v35, v63
	v_pack_b32_f16 v3, v98, v64
	ds_write2_b32 v97, v2, v3 offset1:13
	v_pack_b32_f16 v2, v34, v36
	v_fma_f16 v104, v48, s13, v38
	ds_write_b32 v97, v2 offset:104
	v_mad_legacy_u16 v2, v46, 39, v47
	v_fma_f16 v38, v48, s12, v38
	v_lshlrev_b32_e32 v98, 2, v2
	v_pack_b32_f16 v2, v37, v66
	v_pack_b32_f16 v3, v103, v104
	ds_write2_b32 v98, v2, v3 offset1:13
	v_pack_b32_f16 v2, v4, v38
	ds_write_b32 v98, v2 offset:104
	v_mul_lo_u16_sdwa v2, v79, s16 dst_sel:DWORD dst_unused:UNUSED_PAD src0_sel:BYTE_0 src1_sel:DWORD
	v_sub_u16_sdwa v3, v79, v2 dst_sel:DWORD dst_unused:UNUSED_PAD src0_sel:DWORD src1_sel:BYTE_1
	v_lshrrev_b16_e32 v3, 1, v3
	v_and_b32_e32 v3, 0x7f, v3
	v_add_u16_sdwa v2, v3, v2 dst_sel:DWORD dst_unused:UNUSED_PAD src0_sel:DWORD src1_sel:BYTE_1
	v_lshrrev_b16_e32 v2, 5, v2
	v_and_b32_e32 v11, 7, v2
	v_mul_lo_u16_e32 v2, 39, v11
	v_sub_u16_e32 v2, v79, v2
	v_and_b32_e32 v49, 0xff, v2
	v_lshlrev_b32_e32 v2, 3, v49
	s_waitcnt lgkmcnt(0)
	s_barrier
	global_load_dwordx2 v[33:34], v2, s[4:5] offset:104
	v_mul_lo_u16_sdwa v2, v51, s16 dst_sel:DWORD dst_unused:UNUSED_PAD src0_sel:BYTE_0 src1_sel:DWORD
	v_sub_u16_sdwa v3, v51, v2 dst_sel:DWORD dst_unused:UNUSED_PAD src0_sel:DWORD src1_sel:BYTE_1
	v_lshrrev_b16_e32 v3, 1, v3
	v_and_b32_e32 v3, 0x7f, v3
	v_add_u16_sdwa v2, v3, v2 dst_sel:DWORD dst_unused:UNUSED_PAD src0_sel:DWORD src1_sel:BYTE_1
	v_lshrrev_b16_e32 v2, 5, v2
	v_and_b32_e32 v50, 7, v2
	v_mul_lo_u16_e32 v2, 39, v50
	v_sub_u16_e32 v2, v51, v2
	s_mov_b32 s16, 0xa41b
	v_and_b32_e32 v52, 0xff, v2
	v_mul_u32_u24_sdwa v2, v8, s16 dst_sel:DWORD dst_unused:UNUSED_PAD src0_sel:WORD_0 src1_sel:DWORD
	v_sub_u16_sdwa v3, v8, v2 dst_sel:DWORD dst_unused:UNUSED_PAD src0_sel:DWORD src1_sel:WORD_1
	v_lshrrev_b16_e32 v3, 1, v3
	v_add_u16_sdwa v2, v3, v2 dst_sel:DWORD dst_unused:UNUSED_PAD src0_sel:DWORD src1_sel:WORD_1
	v_lshrrev_b16_e32 v54, 5, v2
	v_mul_lo_u16_e32 v2, 39, v54
	v_sub_u16_e32 v59, v8, v2
	v_lshlrev_b16_e32 v2, 3, v59
	v_lshlrev_b32_e32 v4, 3, v52
	v_mov_b32_e32 v60, s5
	v_add_co_u32_e32 v2, vcc, s4, v2
	v_addc_co_u32_e32 v3, vcc, 0, v60, vcc
	global_load_dwordx2 v[37:38], v4, s[4:5] offset:104
	global_load_dwordx2 v[35:36], v[2:3], off offset:104
	v_mul_u32_u24_sdwa v2, v1, s16 dst_sel:DWORD dst_unused:UNUSED_PAD src0_sel:WORD_0 src1_sel:DWORD
	v_sub_u16_sdwa v3, v1, v2 dst_sel:DWORD dst_unused:UNUSED_PAD src0_sel:DWORD src1_sel:WORD_1
	v_lshrrev_b16_e32 v3, 1, v3
	v_add_u16_sdwa v2, v3, v2 dst_sel:DWORD dst_unused:UNUSED_PAD src0_sel:DWORD src1_sel:WORD_1
	v_lshrrev_b16_e32 v61, 5, v2
	v_mul_lo_u16_e32 v2, 39, v61
	v_sub_u16_e32 v62, v1, v2
	v_lshlrev_b16_e32 v2, 3, v62
	v_add_co_u32_e32 v2, vcc, s4, v2
	v_addc_co_u32_e32 v3, vcc, 0, v60, vcc
	global_load_dwordx2 v[39:40], v[2:3], off offset:104
	v_mul_u32_u24_sdwa v2, v0, s16 dst_sel:DWORD dst_unused:UNUSED_PAD src0_sel:WORD_0 src1_sel:DWORD
	v_sub_u16_sdwa v3, v0, v2 dst_sel:DWORD dst_unused:UNUSED_PAD src0_sel:DWORD src1_sel:WORD_1
	v_lshrrev_b16_e32 v3, 1, v3
	v_add_u16_sdwa v2, v3, v2 dst_sel:DWORD dst_unused:UNUSED_PAD src0_sel:DWORD src1_sel:WORD_1
	v_lshrrev_b16_e32 v63, 5, v2
	v_mul_lo_u16_e32 v2, 39, v63
	v_sub_u16_e32 v64, v0, v2
	v_lshlrev_b16_e32 v2, 3, v64
	v_add_co_u32_e32 v2, vcc, s4, v2
	v_addc_co_u32_e32 v3, vcc, 0, v60, vcc
	global_load_dwordx2 v[41:42], v[2:3], off offset:104
	ds_read2_b32 v[2:3], v67 offset1:117
	ds_read2_b32 v[4:5], v56 offset0:84 offset1:201
	ds_read2_b32 v[6:7], v55 offset0:18 offset1:135
	;; [unrolled: 1-line block ×5, first 2 shown]
	s_waitcnt lgkmcnt(4)
	v_lshrrev_b32_e32 v101, 16, v5
	s_waitcnt lgkmcnt(3)
	v_lshrrev_b32_e32 v102, 16, v6
	;; [unrolled: 2-line block ×3, first 2 shown]
	v_lshrrev_b32_e32 v105, 16, v7
	v_lshrrev_b32_e32 v107, 16, v10
	s_waitcnt lgkmcnt(1)
	v_lshrrev_b32_e32 v108, 16, v45
	s_waitcnt lgkmcnt(0)
	v_lshrrev_b32_e32 v111, 16, v47
	ds_read_b32 v110, v67 offset:6552
	v_lshrrev_b32_e32 v112, 16, v46
	v_lshrrev_b32_e32 v114, 16, v48
	v_lshrrev_b32_e32 v66, 16, v2
	ds_read2_b32 v[43:44], v53 offset0:106 offset1:223
	s_waitcnt lgkmcnt(1)
	v_lshrrev_b32_e32 v115, 16, v110
	v_lshrrev_b32_e32 v103, 16, v3
	;; [unrolled: 1-line block ×3, first 2 shown]
	v_mul_u32_u24_sdwa v11, v11, s14 dst_sel:DWORD dst_unused:UNUSED_PAD src0_sel:WORD_0 src1_sel:DWORD
	s_waitcnt lgkmcnt(0)
	v_lshrrev_b32_e32 v106, 16, v43
	v_lshrrev_b32_e32 v109, 16, v44
	s_waitcnt vmcnt(0)
	s_barrier
	v_mul_f16_sdwa v116, v101, v33 dst_sel:DWORD dst_unused:UNUSED_PAD src0_sel:DWORD src1_sel:WORD_1
	v_fma_f16 v116, v5, v33, -v116
	v_mul_f16_sdwa v5, v5, v33 dst_sel:DWORD dst_unused:UNUSED_PAD src0_sel:DWORD src1_sel:WORD_1
	v_fma_f16 v5, v101, v33, v5
	v_mul_f16_sdwa v101, v102, v34 dst_sel:DWORD dst_unused:UNUSED_PAD src0_sel:DWORD src1_sel:WORD_1
	v_fma_f16 v101, v6, v34, -v101
	v_mul_f16_sdwa v6, v6, v34 dst_sel:DWORD dst_unused:UNUSED_PAD src0_sel:DWORD src1_sel:WORD_1
	v_fma_f16 v6, v102, v34, v6
	v_add_f16_e32 v117, v116, v101
	v_mul_f16_sdwa v102, v104, v37 dst_sel:DWORD dst_unused:UNUSED_PAD src0_sel:DWORD src1_sel:WORD_1
	v_fma_f16 v102, v9, v37, -v102
	v_mul_f16_sdwa v9, v9, v37 dst_sel:DWORD dst_unused:UNUSED_PAD src0_sel:DWORD src1_sel:WORD_1
	v_fma_f16 v9, v104, v37, v9
	v_mul_f16_sdwa v104, v105, v38 dst_sel:DWORD dst_unused:UNUSED_PAD src0_sel:DWORD src1_sel:WORD_1
	v_fma_f16 v104, v7, v38, -v104
	v_mul_f16_sdwa v7, v7, v38 dst_sel:DWORD dst_unused:UNUSED_PAD src0_sel:DWORD src1_sel:WORD_1
	v_fma_f16 v7, v105, v38, v7
	;; [unrolled: 4-line block ×8, first 2 shown]
	v_add_f16_e32 v115, v2, v116
	v_fma_f16 v2, v117, -0.5, v2
	v_sub_f16_e32 v117, v5, v6
	v_fma_f16 v118, v117, s12, v2
	v_fma_f16 v2, v117, s13, v2
	v_add_f16_e32 v117, v66, v5
	v_add_f16_e32 v5, v5, v6
	;; [unrolled: 1-line block ×4, first 2 shown]
	v_fma_f16 v5, v5, -0.5, v66
	v_sub_f16_e32 v6, v116, v101
	v_add_f16_e32 v101, v102, v104
	v_fma_f16 v66, v6, s13, v5
	v_fma_f16 v5, v6, s12, v5
	v_add_f16_e32 v6, v3, v102
	v_fma_f16 v3, v101, -0.5, v3
	v_sub_f16_e32 v101, v9, v7
	v_fma_f16 v116, v101, s12, v3
	v_fma_f16 v3, v101, s13, v3
	v_add_f16_e32 v101, v103, v9
	v_add_f16_e32 v119, v101, v7
	;; [unrolled: 1-line block ×3, first 2 shown]
	v_fma_f16 v7, v7, -0.5, v103
	v_sub_f16_e32 v9, v102, v104
	v_add_f16_e32 v101, v105, v107
	v_fma_f16 v103, v9, s13, v7
	v_fma_f16 v7, v9, s12, v7
	v_add_f16_e32 v9, v43, v105
	v_fma_f16 v43, v101, -0.5, v43
	v_sub_f16_e32 v101, v10, v45
	v_add_f16_e32 v6, v6, v104
	v_fma_f16 v104, v101, s12, v43
	v_fma_f16 v43, v101, s13, v43
	v_add_f16_e32 v101, v106, v10
	v_add_f16_e32 v10, v10, v45
	;; [unrolled: 1-line block ×3, first 2 shown]
	v_fma_f16 v10, v10, -0.5, v106
	v_sub_f16_e32 v45, v105, v107
	v_add_f16_e32 v101, v108, v111
	v_fma_f16 v105, v45, s13, v10
	v_fma_f16 v10, v45, s12, v10
	v_add_f16_e32 v45, v44, v108
	v_fma_f16 v44, v101, -0.5, v44
	v_sub_f16_e32 v101, v47, v46
	v_fma_f16 v106, v101, s12, v44
	v_fma_f16 v44, v101, s13, v44
	v_add_f16_e32 v101, v109, v47
	v_add_f16_e32 v9, v9, v107
	;; [unrolled: 1-line block ×4, first 2 shown]
	v_fma_f16 v46, v46, -0.5, v109
	v_sub_f16_e32 v47, v108, v111
	v_add_f16_e32 v101, v112, v114
	v_fma_f16 v108, v47, s13, v46
	v_fma_f16 v46, v47, s12, v46
	v_add_f16_e32 v47, v4, v112
	v_fma_f16 v4, v101, -0.5, v4
	v_sub_f16_e32 v101, v48, v110
	v_fma_f16 v109, v101, s12, v4
	v_fma_f16 v4, v101, s13, v4
	v_add_f16_e32 v101, v113, v48
	v_add_f16_e32 v48, v48, v110
	;; [unrolled: 1-line block ×4, first 2 shown]
	v_fma_f16 v48, v48, -0.5, v113
	v_sub_f16_e32 v101, v112, v114
	v_fma_f16 v110, v101, s13, v48
	v_fma_f16 v48, v101, s12, v48
	v_add_lshl_u32 v101, v11, v49, 2
	v_pack_b32_f16 v2, v2, v5
	ds_write_b32 v101, v2 offset:312
	v_mul_u32_u24_sdwa v2, v50, s14 dst_sel:DWORD dst_unused:UNUSED_PAD src0_sel:WORD_0 src1_sel:DWORD
	v_pack_b32_f16 v11, v115, v117
	v_pack_b32_f16 v49, v118, v66
	v_add_lshl_u32 v102, v2, v52, 2
	v_pack_b32_f16 v2, v6, v119
	v_pack_b32_f16 v5, v116, v103
	ds_write2_b32 v101, v11, v49 offset1:39
	ds_write2_b32 v102, v2, v5 offset1:39
	v_pack_b32_f16 v2, v3, v7
	ds_write_b32 v102, v2 offset:312
	v_mad_legacy_u16 v2, v54, s14, v59
	v_lshlrev_b32_e32 v103, 2, v2
	v_pack_b32_f16 v2, v9, v120
	v_pack_b32_f16 v3, v104, v105
	ds_write2_b32 v103, v2, v3 offset1:39
	v_pack_b32_f16 v2, v43, v10
	ds_write_b32 v103, v2 offset:312
	v_mad_legacy_u16 v2, v61, s14, v62
	v_lshlrev_b32_e32 v104, 2, v2
	v_pack_b32_f16 v2, v45, v107
	v_pack_b32_f16 v3, v106, v108
	ds_write2_b32 v104, v2, v3 offset1:39
	v_pack_b32_f16 v2, v44, v46
	v_add_f16_e32 v47, v47, v114
	ds_write_b32 v104, v2 offset:312
	v_mad_legacy_u16 v2, v63, s14, v64
	v_lshlrev_b32_e32 v105, 2, v2
	v_pack_b32_f16 v2, v47, v111
	v_pack_b32_f16 v3, v109, v110
	ds_write2_b32 v105, v2, v3 offset1:39
	v_pack_b32_f16 v2, v4, v48
	ds_write_b32 v105, v2 offset:312
	v_lshlrev_b32_e32 v2, 3, v79
	s_mov_b32 s14, 0x8c09
	s_waitcnt lgkmcnt(0)
	s_barrier
	global_load_dwordx2 v[43:44], v2, s[4:5] offset:416
	v_mul_u32_u24_sdwa v2, v8, s14 dst_sel:DWORD dst_unused:UNUSED_PAD src0_sel:WORD_0 src1_sel:DWORD
	v_lshrrev_b32_e32 v2, 22, v2
	v_mul_lo_u16_e32 v2, 0x75, v2
	v_sub_u16_e32 v11, v8, v2
	v_lshlrev_b16_e32 v2, 3, v11
	v_add_co_u32_e32 v2, vcc, s4, v2
	v_addc_co_u32_e32 v3, vcc, 0, v60, vcc
	global_load_dwordx2 v[45:46], v[2:3], off offset:416
	v_mul_u32_u24_sdwa v2, v1, s14 dst_sel:DWORD dst_unused:UNUSED_PAD src0_sel:WORD_0 src1_sel:DWORD
	v_lshrrev_b32_e32 v2, 22, v2
	v_mul_lo_u16_e32 v2, 0x75, v2
	v_sub_u16_e32 v52, v1, v2
	v_lshlrev_b16_e32 v1, 3, v52
	v_add_co_u32_e32 v1, vcc, s4, v1
	v_addc_co_u32_e32 v2, vcc, 0, v60, vcc
	global_load_dwordx2 v[47:48], v[1:2], off offset:416
	;; [unrolled: 8-line block ×3, first 2 shown]
	ds_read2_b32 v[0:1], v67 offset1:117
	ds_read2_b32 v[2:3], v56 offset0:84 offset1:201
	ds_read2_b32 v[4:5], v55 offset0:18 offset1:135
	;; [unrolled: 1-line block ×5, first 2 shown]
	s_waitcnt lgkmcnt(4)
	v_lshrrev_b32_e32 v64, 16, v3
	s_waitcnt lgkmcnt(3)
	v_lshrrev_b32_e32 v66, 16, v4
	;; [unrolled: 2-line block ×3, first 2 shown]
	v_lshrrev_b32_e32 v108, 16, v5
	v_lshrrev_b32_e32 v110, 16, v7
	s_waitcnt lgkmcnt(1)
	v_lshrrev_b32_e32 v111, 16, v59
	s_waitcnt lgkmcnt(0)
	v_lshrrev_b32_e32 v114, 16, v61
	ds_read_b32 v113, v67 offset:6552
	v_lshrrev_b32_e32 v115, 16, v60
	v_lshrrev_b32_e32 v117, 16, v62
	;; [unrolled: 1-line block ×3, first 2 shown]
	ds_read2_b32 v[9:10], v53 offset0:106 offset1:223
	s_waitcnt lgkmcnt(1)
	v_lshrrev_b32_e32 v118, 16, v113
	v_lshrrev_b32_e32 v106, 16, v1
	;; [unrolled: 1-line block ×3, first 2 shown]
	s_waitcnt lgkmcnt(0)
	v_lshrrev_b32_e32 v109, 16, v9
	v_lshrrev_b32_e32 v112, 16, v10
	s_waitcnt vmcnt(0)
	s_barrier
	v_lshlrev_b32_e32 v8, 4, v8
	v_mul_f16_sdwa v119, v64, v43 dst_sel:DWORD dst_unused:UNUSED_PAD src0_sel:DWORD src1_sel:WORD_1
	v_fma_f16 v119, v3, v43, -v119
	v_mul_f16_sdwa v3, v3, v43 dst_sel:DWORD dst_unused:UNUSED_PAD src0_sel:DWORD src1_sel:WORD_1
	v_fma_f16 v3, v64, v43, v3
	v_mul_f16_sdwa v64, v66, v44 dst_sel:DWORD dst_unused:UNUSED_PAD src0_sel:DWORD src1_sel:WORD_1
	v_fma_f16 v64, v4, v44, -v64
	v_mul_f16_sdwa v4, v4, v44 dst_sel:DWORD dst_unused:UNUSED_PAD src0_sel:DWORD src1_sel:WORD_1
	v_fma_f16 v4, v66, v44, v4
	;; [unrolled: 4-line block ×9, first 2 shown]
	v_mul_f16_sdwa v117, v118, v50 dst_sel:DWORD dst_unused:UNUSED_PAD src0_sel:DWORD src1_sel:WORD_1
	v_fma_f16 v117, v113, v50, -v117
	v_mul_f16_sdwa v113, v113, v50 dst_sel:DWORD dst_unused:UNUSED_PAD src0_sel:DWORD src1_sel:WORD_1
	v_add_f16_e32 v120, v119, v64
	v_fma_f16 v113, v118, v50, v113
	v_add_f16_e32 v118, v0, v119
	v_fma_f16 v0, v120, -0.5, v0
	v_sub_f16_e32 v120, v3, v4
	v_fma_f16 v121, v120, s12, v0
	v_fma_f16 v0, v120, s13, v0
	v_add_f16_e32 v120, v63, v3
	v_add_f16_e32 v3, v3, v4
	v_add_f16_e32 v118, v118, v64
	v_add_f16_e32 v120, v120, v4
	v_fma_f16 v3, v3, -0.5, v63
	v_sub_f16_e32 v4, v119, v64
	v_add_f16_e32 v64, v66, v107
	v_fma_f16 v63, v4, s13, v3
	v_fma_f16 v3, v4, s12, v3
	v_add_f16_e32 v4, v1, v66
	v_fma_f16 v1, v64, -0.5, v1
	v_sub_f16_e32 v64, v6, v5
	v_fma_f16 v119, v64, s12, v1
	v_fma_f16 v1, v64, s13, v1
	v_add_f16_e32 v64, v106, v6
	v_add_f16_e32 v64, v64, v5
	;; [unrolled: 1-line block ×3, first 2 shown]
	v_fma_f16 v5, v5, -0.5, v106
	v_sub_f16_e32 v6, v66, v107
	v_add_f16_e32 v106, v108, v110
	v_fma_f16 v66, v6, s13, v5
	v_fma_f16 v5, v6, s12, v5
	v_add_f16_e32 v6, v9, v108
	v_fma_f16 v9, v106, -0.5, v9
	v_sub_f16_e32 v106, v7, v59
	v_add_f16_e32 v4, v4, v107
	v_fma_f16 v107, v106, s12, v9
	v_fma_f16 v9, v106, s13, v9
	v_add_f16_e32 v106, v109, v7
	v_add_f16_e32 v7, v7, v59
	;; [unrolled: 1-line block ×3, first 2 shown]
	v_fma_f16 v7, v7, -0.5, v109
	v_sub_f16_e32 v59, v108, v110
	v_add_f16_e32 v106, v111, v114
	v_fma_f16 v108, v59, s13, v7
	v_fma_f16 v7, v59, s12, v7
	v_add_f16_e32 v59, v10, v111
	v_fma_f16 v10, v106, -0.5, v10
	v_sub_f16_e32 v106, v61, v60
	v_fma_f16 v109, v106, s12, v10
	v_fma_f16 v10, v106, s13, v10
	v_add_f16_e32 v106, v112, v61
	v_add_f16_e32 v6, v6, v110
	;; [unrolled: 1-line block ×4, first 2 shown]
	v_fma_f16 v60, v60, -0.5, v112
	v_sub_f16_e32 v61, v111, v114
	v_add_f16_e32 v106, v115, v117
	v_fma_f16 v111, v61, s13, v60
	v_fma_f16 v60, v61, s12, v60
	v_add_f16_e32 v61, v2, v115
	v_fma_f16 v2, v106, -0.5, v2
	v_sub_f16_e32 v106, v62, v113
	v_fma_f16 v112, v106, s12, v2
	v_fma_f16 v2, v106, s13, v2
	v_add_f16_e32 v106, v116, v62
	v_add_f16_e32 v62, v62, v113
	;; [unrolled: 1-line block ×4, first 2 shown]
	v_fma_f16 v62, v62, -0.5, v116
	v_sub_f16_e32 v106, v115, v117
	v_fma_f16 v113, v106, s13, v62
	v_fma_f16 v62, v106, s12, v62
	v_pack_b32_f16 v106, v118, v120
	v_pack_b32_f16 v63, v121, v63
	;; [unrolled: 1-line block ×4, first 2 shown]
	ds_write2_b32 v67, v106, v63 offset1:117
	ds_write2_b32 v53, v0, v3 offset0:106 offset1:223
	v_pack_b32_f16 v0, v119, v66
	v_pack_b32_f16 v1, v1, v5
	v_lshlrev_b32_e32 v106, 2, v11
	ds_write2_b32 v56, v0, v1 offset0:84 offset1:201
	v_pack_b32_f16 v0, v6, v122
	v_pack_b32_f16 v1, v107, v108
	v_add_u32_e32 v3, 0xa00, v106
	ds_write2_b32 v3, v0, v1 offset0:62 offset1:179
	v_pack_b32_f16 v0, v9, v7
	v_lshlrev_b32_e32 v107, 2, v52
	ds_write_b32 v106, v0 offset:3744
	v_pack_b32_f16 v0, v59, v110
	v_pack_b32_f16 v1, v109, v111
	v_add_u32_e32 v3, 0x1000, v107
	v_add_f16_e32 v61, v61, v117
	ds_write2_b32 v3, v0, v1 offset0:29 offset1:146
	v_pack_b32_f16 v0, v10, v60
	v_lshlrev_b32_e32 v108, 2, v54
	ds_write_b32 v107, v0 offset:5148
	v_pack_b32_f16 v0, v61, v114
	v_pack_b32_f16 v1, v112, v113
	v_add_u32_e32 v3, 0x1400, v108
	ds_write2_b32 v3, v0, v1 offset0:124 offset1:241
	v_pack_b32_f16 v0, v2, v62
	ds_write_b32 v108, v0 offset:6552
	v_lshlrev_b32_e32 v0, 4, v79
	s_waitcnt lgkmcnt(0)
	s_barrier
	global_load_dwordx4 v[0:3], v0, s[4:5] offset:1352
	v_lshlrev_b32_e32 v4, 4, v51
	global_load_dwordx4 v[4:7], v4, s[4:5] offset:1352
	ds_read2_b32 v[59:60], v53 offset0:106 offset1:223
	global_load_dwordx4 v[8:11], v8, s[4:5] offset:1352
	ds_read2_b32 v[61:62], v57 offset0:62 offset1:179
	ds_read2_b32 v[63:64], v58 offset0:40 offset1:157
	;; [unrolled: 1-line block ×3, first 2 shown]
	s_waitcnt lgkmcnt(3)
	v_lshrrev_b32_e32 v115, 16, v60
	ds_read2_b32 v[111:112], v56 offset0:84 offset1:201
	s_waitcnt lgkmcnt(3)
	v_lshrrev_b32_e32 v116, 16, v61
	s_waitcnt lgkmcnt(2)
	v_lshrrev_b32_e32 v117, 16, v64
	s_waitcnt lgkmcnt(1)
	v_lshrrev_b32_e32 v118, 16, v109
	ds_read2_b32 v[113:114], v55 offset0:18 offset1:135
	s_waitcnt lgkmcnt(1)
	v_lshrrev_b32_e32 v120, 16, v111
	v_lshrrev_b32_e32 v121, 16, v62
	;; [unrolled: 1-line block ×3, first 2 shown]
	ds_read2_b32 v[51:52], v67 offset1:117
	s_waitcnt lgkmcnt(1)
	v_lshrrev_b32_e32 v122, 16, v113
	v_lshrrev_b32_e32 v126, 16, v112
	ds_read_b32 v124, v67 offset:6552
	v_lshrrev_b32_e32 v127, 16, v63
	v_mov_b32_e32 v54, s15
	v_lshrrev_b32_e32 v128, 16, v114
	v_addc_co_u32_e64 v66, vcc, 0, v54, s[2:3]
	s_movk_i32 s2, 0x3b9c
	s_mov_b32 s12, 0xbb9c
	s_waitcnt lgkmcnt(0)
	v_lshrrev_b32_e32 v129, 16, v124
	s_movk_i32 s3, 0x38b4
	s_mov_b32 s13, 0xb8b4
	s_movk_i32 s5, 0x34f2
	v_lshrrev_b32_e32 v54, 16, v51
	v_lshrrev_b32_e32 v119, 16, v52
	;; [unrolled: 1-line block ×3, first 2 shown]
	s_movk_i32 s4, 0x1000
	s_waitcnt vmcnt(2)
	v_mul_f16_sdwa v130, v115, v0 dst_sel:DWORD dst_unused:UNUSED_PAD src0_sel:DWORD src1_sel:WORD_1
	v_fma_f16 v130, v60, v0, -v130
	v_mul_f16_sdwa v60, v60, v0 dst_sel:DWORD dst_unused:UNUSED_PAD src0_sel:DWORD src1_sel:WORD_1
	v_fma_f16 v60, v115, v0, v60
	v_mul_f16_sdwa v115, v116, v1 dst_sel:DWORD dst_unused:UNUSED_PAD src0_sel:DWORD src1_sel:WORD_1
	v_fma_f16 v115, v61, v1, -v115
	v_mul_f16_sdwa v61, v61, v1 dst_sel:DWORD dst_unused:UNUSED_PAD src0_sel:DWORD src1_sel:WORD_1
	v_fma_f16 v61, v116, v1, v61
	;; [unrolled: 4-line block ×4, first 2 shown]
	s_waitcnt vmcnt(1)
	v_mul_f16_sdwa v118, v120, v4 dst_sel:DWORD dst_unused:UNUSED_PAD src0_sel:DWORD src1_sel:WORD_1
	v_fma_f16 v118, v111, v4, -v118
	v_mul_f16_sdwa v111, v111, v4 dst_sel:DWORD dst_unused:UNUSED_PAD src0_sel:DWORD src1_sel:WORD_1
	v_fma_f16 v111, v120, v4, v111
	v_mul_f16_sdwa v120, v121, v5 dst_sel:DWORD dst_unused:UNUSED_PAD src0_sel:DWORD src1_sel:WORD_1
	v_fma_f16 v120, v62, v5, -v120
	v_mul_f16_sdwa v62, v62, v5 dst_sel:DWORD dst_unused:UNUSED_PAD src0_sel:DWORD src1_sel:WORD_1
	v_fma_f16 v62, v121, v5, v62
	;; [unrolled: 4-line block ×4, first 2 shown]
	s_waitcnt vmcnt(0)
	v_mul_f16_sdwa v123, v126, v8 dst_sel:DWORD dst_unused:UNUSED_PAD src0_sel:DWORD src1_sel:WORD_1
	v_fma_f16 v123, v112, v8, -v123
	v_mul_f16_sdwa v112, v112, v8 dst_sel:DWORD dst_unused:UNUSED_PAD src0_sel:DWORD src1_sel:WORD_1
	v_fma_f16 v112, v126, v8, v112
	v_mul_f16_sdwa v126, v127, v9 dst_sel:DWORD dst_unused:UNUSED_PAD src0_sel:DWORD src1_sel:WORD_1
	v_fma_f16 v126, v63, v9, -v126
	v_mul_f16_sdwa v63, v63, v9 dst_sel:DWORD dst_unused:UNUSED_PAD src0_sel:DWORD src1_sel:WORD_1
	v_add_f16_e32 v131, v115, v116
	v_fma_f16 v63, v127, v9, v63
	v_mul_f16_sdwa v127, v128, v10 dst_sel:DWORD dst_unused:UNUSED_PAD src0_sel:DWORD src1_sel:WORD_1
	v_fma_f16 v131, v131, -0.5, v51
	v_sub_f16_e32 v132, v60, v109
	v_fma_f16 v127, v114, v10, -v127
	v_mul_f16_sdwa v114, v114, v10 dst_sel:DWORD dst_unused:UNUSED_PAD src0_sel:DWORD src1_sel:WORD_1
	v_fma_f16 v133, v132, s2, v131
	v_sub_f16_e32 v134, v61, v64
	v_sub_f16_e32 v135, v130, v115
	;; [unrolled: 1-line block ×3, first 2 shown]
	v_fma_f16 v131, v132, s12, v131
	v_fma_f16 v114, v128, v10, v114
	v_mul_f16_sdwa v128, v129, v11 dst_sel:DWORD dst_unused:UNUSED_PAD src0_sel:DWORD src1_sel:WORD_1
	v_fma_f16 v133, v134, s3, v133
	v_add_f16_e32 v135, v135, v136
	v_fma_f16 v131, v134, s13, v131
	v_fma_f16 v128, v124, v11, -v128
	v_mul_f16_sdwa v124, v124, v11 dst_sel:DWORD dst_unused:UNUSED_PAD src0_sel:DWORD src1_sel:WORD_1
	v_fma_f16 v133, v135, s5, v133
	v_fma_f16 v131, v135, s5, v131
	v_add_f16_e32 v135, v130, v117
	v_fma_f16 v124, v129, v11, v124
	v_add_f16_e32 v129, v51, v130
	v_fma_f16 v51, v135, -0.5, v51
	v_fma_f16 v135, v134, s12, v51
	v_sub_f16_e32 v136, v115, v130
	v_sub_f16_e32 v137, v116, v117
	v_fma_f16 v51, v134, s2, v51
	v_add_f16_e32 v136, v136, v137
	v_fma_f16 v51, v132, s13, v51
	v_fma_f16 v135, v132, s3, v135
	;; [unrolled: 1-line block ×3, first 2 shown]
	v_add_f16_e32 v51, v54, v60
	v_add_f16_e32 v51, v51, v61
	;; [unrolled: 1-line block ×8, first 2 shown]
	v_fma_f16 v51, v51, -0.5, v54
	v_sub_f16_e32 v117, v130, v117
	v_fma_f16 v130, v117, s12, v51
	v_sub_f16_e32 v115, v115, v116
	v_fma_f16 v135, v136, s5, v135
	v_fma_f16 v116, v115, s13, v130
	v_sub_f16_e32 v130, v60, v61
	v_sub_f16_e32 v136, v109, v64
	v_fma_f16 v51, v117, s2, v51
	v_add_f16_e32 v130, v130, v136
	v_fma_f16 v51, v115, s3, v51
	v_fma_f16 v116, v130, s5, v116
	;; [unrolled: 1-line block ×3, first 2 shown]
	v_add_f16_e32 v51, v60, v109
	v_fma_f16 v51, v51, -0.5, v54
	v_fma_f16 v54, v115, s2, v51
	v_sub_f16_e32 v60, v61, v60
	v_sub_f16_e32 v61, v64, v109
	v_fma_f16 v51, v115, s12, v51
	v_fma_f16 v54, v117, s13, v54
	v_add_f16_e32 v60, v60, v61
	v_fma_f16 v51, v117, s3, v51
	v_fma_f16 v54, v60, s5, v54
	;; [unrolled: 1-line block ×3, first 2 shown]
	v_add_f16_e32 v51, v52, v118
	v_add_f16_e32 v51, v51, v120
	;; [unrolled: 1-line block ×5, first 2 shown]
	v_fma_f16 v51, v51, -0.5, v52
	v_sub_f16_e32 v64, v111, v110
	v_fma_f16 v109, v64, s2, v51
	v_sub_f16_e32 v115, v62, v113
	v_sub_f16_e32 v117, v118, v120
	;; [unrolled: 1-line block ×3, first 2 shown]
	v_fma_f16 v51, v64, s12, v51
	v_fma_f16 v109, v115, s3, v109
	v_add_f16_e32 v117, v117, v136
	v_fma_f16 v51, v115, s13, v51
	v_fma_f16 v136, v117, s5, v109
	;; [unrolled: 1-line block ×3, first 2 shown]
	v_add_f16_e32 v51, v118, v122
	v_fma_f16 v51, v51, -0.5, v52
	v_fma_f16 v52, v115, s12, v51
	v_sub_f16_e32 v109, v120, v118
	v_sub_f16_e32 v137, v121, v122
	v_fma_f16 v51, v115, s2, v51
	v_add_f16_e32 v109, v109, v137
	v_fma_f16 v51, v64, s13, v51
	v_fma_f16 v52, v64, s3, v52
	;; [unrolled: 1-line block ×3, first 2 shown]
	v_add_f16_e32 v51, v119, v111
	v_add_f16_e32 v51, v51, v62
	;; [unrolled: 1-line block ×5, first 2 shown]
	v_fma_f16 v137, v109, s5, v52
	v_fma_f16 v51, v51, -0.5, v119
	v_sub_f16_e32 v52, v118, v122
	v_fma_f16 v109, v52, s12, v51
	v_sub_f16_e32 v118, v120, v121
	v_sub_f16_e32 v120, v111, v62
	;; [unrolled: 1-line block ×3, first 2 shown]
	v_fma_f16 v51, v52, s2, v51
	v_fma_f16 v109, v118, s13, v109
	v_add_f16_e32 v120, v120, v121
	v_fma_f16 v51, v118, s3, v51
	v_fma_f16 v121, v120, s5, v109
	;; [unrolled: 1-line block ×3, first 2 shown]
	v_add_f16_e32 v51, v111, v110
	v_fma_f16 v51, v51, -0.5, v119
	v_fma_f16 v109, v118, s2, v51
	v_sub_f16_e32 v62, v62, v111
	v_sub_f16_e32 v110, v113, v110
	v_fma_f16 v51, v118, s12, v51
	v_fma_f16 v109, v52, s13, v109
	v_add_f16_e32 v62, v62, v110
	v_fma_f16 v51, v52, s3, v51
	v_fma_f16 v111, v62, s5, v109
	;; [unrolled: 1-line block ×3, first 2 shown]
	v_add_f16_e32 v51, v59, v123
	v_add_f16_e32 v51, v51, v126
	;; [unrolled: 1-line block ×5, first 2 shown]
	v_fma_f16 v51, v51, -0.5, v59
	v_sub_f16_e32 v109, v112, v124
	v_fma_f16 v52, v109, s2, v51
	v_sub_f16_e32 v110, v63, v114
	v_sub_f16_e32 v118, v123, v126
	;; [unrolled: 1-line block ×3, first 2 shown]
	v_fma_f16 v51, v109, s12, v51
	v_fma_f16 v52, v110, s3, v52
	v_add_f16_e32 v118, v118, v119
	v_fma_f16 v51, v110, s13, v51
	v_fma_f16 v119, v118, s5, v52
	;; [unrolled: 1-line block ×3, first 2 shown]
	v_add_f16_e32 v51, v123, v128
	v_fma_f16 v51, v51, -0.5, v59
	v_fma_f16 v59, v110, s12, v51
	v_fma_f16 v51, v110, s2, v51
	v_fma_f16 v59, v109, s3, v59
	v_fma_f16 v51, v109, s13, v51
	v_add_f16_e32 v109, v125, v112
	v_sub_f16_e32 v118, v126, v123
	v_sub_f16_e32 v122, v127, v128
	v_add_f16_e32 v109, v109, v63
	v_add_f16_e32 v118, v118, v122
	;; [unrolled: 1-line block ×3, first 2 shown]
	v_fma_f16 v59, v118, s5, v59
	v_fma_f16 v51, v118, s5, v51
	v_add_f16_e32 v118, v109, v124
	v_add_f16_e32 v109, v63, v114
	v_fma_f16 v109, v109, -0.5, v125
	v_sub_f16_e32 v122, v123, v128
	v_fma_f16 v110, v122, s12, v109
	v_sub_f16_e32 v123, v126, v127
	v_sub_f16_e32 v126, v112, v63
	;; [unrolled: 1-line block ×3, first 2 shown]
	v_fma_f16 v109, v122, s2, v109
	v_fma_f16 v110, v123, s13, v110
	v_add_f16_e32 v126, v126, v127
	v_fma_f16 v109, v123, s3, v109
	v_fma_f16 v127, v126, s5, v110
	;; [unrolled: 1-line block ×3, first 2 shown]
	v_add_f16_e32 v109, v112, v124
	v_fma_f16 v109, v109, -0.5, v125
	v_fma_f16 v125, v123, s2, v109
	v_sub_f16_e32 v63, v63, v112
	v_sub_f16_e32 v112, v114, v124
	v_fma_f16 v109, v123, s12, v109
	v_fma_f16 v125, v122, s13, v125
	v_add_f16_e32 v63, v63, v112
	v_fma_f16 v109, v122, s3, v109
	v_fma_f16 v112, v63, s5, v125
	;; [unrolled: 1-line block ×3, first 2 shown]
	v_pack_b32_f16 v63, v129, v134
	v_pack_b32_f16 v61, v61, v115
	;; [unrolled: 1-line block ×3, first 2 shown]
	ds_write2_b32 v67, v63, v61 offset1:117
	v_pack_b32_f16 v63, v137, v111
	v_pack_b32_f16 v114, v133, v116
	;; [unrolled: 1-line block ×3, first 2 shown]
	ds_write2_b32 v57, v54, v63 offset0:62 offset1:179
	v_pack_b32_f16 v54, v64, v62
	v_pack_b32_f16 v62, v117, v120
	ds_write2_b32 v65, v116, v62 offset0:124 offset1:241
	v_pack_b32_f16 v62, v113, v118
	v_pack_b32_f16 v61, v136, v121
	;; [unrolled: 3-line block ×3, first 2 shown]
	ds_write2_b32 v56, v61, v53 offset0:84 offset1:201
	v_pack_b32_f16 v53, v59, v112
	ds_write2_b32 v58, v53, v60 offset0:40 offset1:157
	v_pack_b32_f16 v53, v51, v109
	;; [unrolled: 2-line block ×3, first 2 shown]
	ds_write_b32 v67, v53 offset:6552
	v_add_co_u32_e32 v53, vcc, s4, v12
	v_addc_co_u32_e32 v54, vcc, 0, v66, vcc
	s_waitcnt lgkmcnt(0)
	s_barrier
	global_load_dword v111, v[53:54], off offset:2924
	s_movk_i32 s2, 0x1b6c
	v_add_co_u32_e32 v53, vcc, s2, v12
	v_addc_co_u32_e32 v54, vcc, 0, v66, vcc
	global_load_dword v112, v[53:54], off offset:540
	global_load_dword v113, v[53:54], off offset:1080
	;; [unrolled: 1-line block ×7, first 2 shown]
	s_movk_i32 s2, 0x2000
	v_add_co_u32_e32 v59, vcc, s2, v12
	v_addc_co_u32_e32 v60, vcc, 0, v66, vcc
	global_load_dword v119, v[59:60], off offset:3148
	global_load_dword v120, v[59:60], off offset:3688
	s_movk_i32 s2, 0x3000
	v_add_co_u32_e32 v63, vcc, s2, v12
	v_addc_co_u32_e32 v64, vcc, 0, v66, vcc
	global_load_dword v66, v[63:64], off offset:132
	global_load_dword v121, v[63:64], off offset:672
	;; [unrolled: 1-line block ×3, first 2 shown]
	ds_read2_b32 v[61:62], v67 offset1:135
	s_waitcnt lgkmcnt(0)
	v_lshrrev_b32_e32 v59, 16, v61
	s_waitcnt vmcnt(12)
	v_mul_f16_sdwa v60, v59, v111 dst_sel:DWORD dst_unused:UNUSED_PAD src0_sel:DWORD src1_sel:WORD_1
	v_fma_f16 v60, v61, v111, -v60
	v_mul_f16_sdwa v61, v61, v111 dst_sel:DWORD dst_unused:UNUSED_PAD src0_sel:DWORD src1_sel:WORD_1
	v_fma_f16 v59, v59, v111, v61
	v_pack_b32_f16 v59, v60, v59
	v_lshrrev_b32_e32 v60, 16, v62
	s_waitcnt vmcnt(11)
	v_mul_f16_sdwa v61, v60, v112 dst_sel:DWORD dst_unused:UNUSED_PAD src0_sel:DWORD src1_sel:WORD_1
	v_fma_f16 v61, v62, v112, -v61
	v_mul_f16_sdwa v62, v62, v112 dst_sel:DWORD dst_unused:UNUSED_PAD src0_sel:DWORD src1_sel:WORD_1
	v_fma_f16 v60, v60, v112, v62
	v_pack_b32_f16 v60, v61, v60
	ds_write2_b32 v67, v59, v60 offset1:135
	v_add_u32_e32 v59, 0x400, v67
	ds_read2_b32 v[60:61], v59 offset0:14 offset1:149
	s_waitcnt lgkmcnt(0)
	v_lshrrev_b32_e32 v62, 16, v60
	s_waitcnt vmcnt(10)
	v_mul_f16_sdwa v63, v62, v113 dst_sel:DWORD dst_unused:UNUSED_PAD src0_sel:DWORD src1_sel:WORD_1
	v_fma_f16 v63, v60, v113, -v63
	v_mul_f16_sdwa v60, v60, v113 dst_sel:DWORD dst_unused:UNUSED_PAD src0_sel:DWORD src1_sel:WORD_1
	v_fma_f16 v60, v62, v113, v60
	v_lshrrev_b32_e32 v111, 16, v61
	v_pack_b32_f16 v64, v63, v60
	s_waitcnt vmcnt(9)
	v_mul_f16_sdwa v60, v111, v114 dst_sel:DWORD dst_unused:UNUSED_PAD src0_sel:DWORD src1_sel:WORD_1
	v_fma_f16 v112, v61, v114, -v60
	v_add_u32_e32 v60, 0x800, v67
	ds_read2_b32 v[62:63], v60 offset0:28 offset1:163
	v_mul_f16_sdwa v61, v61, v114 dst_sel:DWORD dst_unused:UNUSED_PAD src0_sel:DWORD src1_sel:WORD_1
	v_fma_f16 v61, v111, v114, v61
	v_pack_b32_f16 v61, v112, v61
	ds_write2_b32 v59, v64, v61 offset0:14 offset1:149
	s_waitcnt lgkmcnt(1)
	v_lshrrev_b32_e32 v61, 16, v62
	s_waitcnt vmcnt(8)
	v_mul_f16_sdwa v64, v61, v115 dst_sel:DWORD dst_unused:UNUSED_PAD src0_sel:DWORD src1_sel:WORD_1
	v_fma_f16 v64, v62, v115, -v64
	v_mul_f16_sdwa v62, v62, v115 dst_sel:DWORD dst_unused:UNUSED_PAD src0_sel:DWORD src1_sel:WORD_1
	v_fma_f16 v61, v61, v115, v62
	v_pack_b32_f16 v62, v64, v61
	v_lshrrev_b32_e32 v64, 16, v63
	s_waitcnt vmcnt(7)
	v_mul_f16_sdwa v61, v64, v116 dst_sel:DWORD dst_unused:UNUSED_PAD src0_sel:DWORD src1_sel:WORD_1
	v_fma_f16 v113, v63, v116, -v61
	v_add_u32_e32 v61, 0xc00, v67
	ds_read2_b32 v[111:112], v61 offset0:42 offset1:177
	v_mul_f16_sdwa v63, v63, v116 dst_sel:DWORD dst_unused:UNUSED_PAD src0_sel:DWORD src1_sel:WORD_1
	v_fma_f16 v63, v64, v116, v63
	v_pack_b32_f16 v63, v113, v63
	ds_write2_b32 v60, v62, v63 offset0:28 offset1:163
	s_waitcnt lgkmcnt(1)
	v_lshrrev_b32_e32 v62, 16, v111
	s_waitcnt vmcnt(6)
	v_mul_f16_sdwa v63, v62, v117 dst_sel:DWORD dst_unused:UNUSED_PAD src0_sel:DWORD src1_sel:WORD_1
	v_mul_f16_sdwa v64, v111, v117 dst_sel:DWORD dst_unused:UNUSED_PAD src0_sel:DWORD src1_sel:WORD_1
	v_fma_f16 v63, v111, v117, -v63
	v_fma_f16 v62, v62, v117, v64
	v_lshrrev_b32_e32 v113, 16, v112
	v_pack_b32_f16 v111, v63, v62
	s_waitcnt vmcnt(5)
	v_mul_f16_sdwa v62, v113, v118 dst_sel:DWORD dst_unused:UNUSED_PAD src0_sel:DWORD src1_sel:WORD_1
	v_fma_f16 v114, v112, v118, -v62
	v_add_u32_e32 v62, 0x1000, v67
	ds_read2_b32 v[63:64], v62 offset0:56 offset1:191
	v_mul_f16_sdwa v112, v112, v118 dst_sel:DWORD dst_unused:UNUSED_PAD src0_sel:DWORD src1_sel:WORD_1
	v_fma_f16 v112, v113, v118, v112
	v_pack_b32_f16 v112, v114, v112
	ds_write2_b32 v61, v111, v112 offset0:42 offset1:177
	s_waitcnt lgkmcnt(1)
	v_lshrrev_b32_e32 v111, 16, v63
	s_waitcnt vmcnt(4)
	v_mul_f16_sdwa v112, v111, v119 dst_sel:DWORD dst_unused:UNUSED_PAD src0_sel:DWORD src1_sel:WORD_1
	v_fma_f16 v112, v63, v119, -v112
	v_mul_f16_sdwa v63, v63, v119 dst_sel:DWORD dst_unused:UNUSED_PAD src0_sel:DWORD src1_sel:WORD_1
	v_lshrrev_b32_e32 v113, 16, v64
	v_fma_f16 v63, v111, v119, v63
	s_waitcnt vmcnt(3)
	v_mul_f16_sdwa v111, v113, v120 dst_sel:DWORD dst_unused:UNUSED_PAD src0_sel:DWORD src1_sel:WORD_1
	v_pack_b32_f16 v63, v112, v63
	v_fma_f16 v114, v64, v120, -v111
	ds_read2_b32 v[111:112], v65 offset0:70 offset1:205
	v_mul_f16_sdwa v64, v64, v120 dst_sel:DWORD dst_unused:UNUSED_PAD src0_sel:DWORD src1_sel:WORD_1
	v_fma_f16 v64, v113, v120, v64
	v_pack_b32_f16 v64, v114, v64
	ds_write2_b32 v62, v63, v64 offset0:56 offset1:191
	s_waitcnt lgkmcnt(1)
	v_lshrrev_b32_e32 v63, 16, v111
	s_waitcnt vmcnt(2)
	v_mul_f16_sdwa v64, v63, v66 dst_sel:DWORD dst_unused:UNUSED_PAD src0_sel:DWORD src1_sel:WORD_1
	v_fma_f16 v64, v111, v66, -v64
	v_mul_f16_sdwa v111, v111, v66 dst_sel:DWORD dst_unused:UNUSED_PAD src0_sel:DWORD src1_sel:WORD_1
	v_fma_f16 v63, v63, v66, v111
	v_pack_b32_f16 v63, v64, v63
	v_lshrrev_b32_e32 v64, 16, v112
	ds_read_b32 v111, v67 offset:6480
	s_waitcnt vmcnt(1)
	v_mul_f16_sdwa v66, v64, v121 dst_sel:DWORD dst_unused:UNUSED_PAD src0_sel:DWORD src1_sel:WORD_1
	v_fma_f16 v66, v112, v121, -v66
	v_mul_f16_sdwa v112, v112, v121 dst_sel:DWORD dst_unused:UNUSED_PAD src0_sel:DWORD src1_sel:WORD_1
	v_fma_f16 v64, v64, v121, v112
	v_pack_b32_f16 v64, v66, v64
	ds_write2_b32 v65, v63, v64 offset0:70 offset1:205
	s_waitcnt lgkmcnt(1)
	v_lshrrev_b32_e32 v63, 16, v111
	s_waitcnt vmcnt(0)
	v_mul_f16_sdwa v64, v63, v122 dst_sel:DWORD dst_unused:UNUSED_PAD src0_sel:DWORD src1_sel:WORD_1
	v_mul_f16_sdwa v66, v111, v122 dst_sel:DWORD dst_unused:UNUSED_PAD src0_sel:DWORD src1_sel:WORD_1
	v_fma_f16 v64, v111, v122, -v64
	v_fma_f16 v63, v63, v122, v66
	v_pack_b32_f16 v63, v64, v63
	ds_write_b32 v67, v63 offset:6480
	s_and_saveexec_b64 s[2:3], s[0:1]
	s_cbranch_execz .LBB0_9
; %bb.8:
	global_load_dword v66, v[53:54], off offset:468
	global_load_dword v111, v[53:54], off offset:1008
	;; [unrolled: 1-line block ×7, first 2 shown]
	v_add_co_u32_e32 v53, vcc, s4, v53
	v_addc_co_u32_e32 v54, vcc, 0, v54, vcc
	global_load_dword v122, v[53:54], off offset:152
	global_load_dword v123, v[53:54], off offset:692
	;; [unrolled: 1-line block ×6, first 2 shown]
	ds_read2_b32 v[63:64], v67 offset0:117 offset1:252
	v_add_u32_e32 v127, 0x1600, v67
	s_waitcnt lgkmcnt(0)
	v_lshrrev_b32_e32 v53, 16, v63
	v_lshrrev_b32_e32 v54, 16, v64
	s_waitcnt vmcnt(12)
	v_mul_f16_sdwa v112, v53, v66 dst_sel:DWORD dst_unused:UNUSED_PAD src0_sel:DWORD src1_sel:WORD_1
	v_mul_f16_sdwa v113, v63, v66 dst_sel:DWORD dst_unused:UNUSED_PAD src0_sel:DWORD src1_sel:WORD_1
	s_waitcnt vmcnt(11)
	v_mul_f16_sdwa v114, v54, v111 dst_sel:DWORD dst_unused:UNUSED_PAD src0_sel:DWORD src1_sel:WORD_1
	v_mul_f16_sdwa v115, v64, v111 dst_sel:DWORD dst_unused:UNUSED_PAD src0_sel:DWORD src1_sel:WORD_1
	v_fma_f16 v63, v63, v66, -v112
	v_fma_f16 v53, v53, v66, v113
	v_fma_f16 v64, v64, v111, -v114
	v_fma_f16 v54, v54, v111, v115
	v_pack_b32_f16 v53, v63, v53
	v_pack_b32_f16 v54, v64, v54
	ds_write2_b32 v67, v53, v54 offset0:117 offset1:252
	ds_read2_b32 v[53:54], v56 offset0:3 offset1:138
	ds_read2_b32 v[63:64], v57 offset0:17 offset1:152
	;; [unrolled: 1-line block ×5, first 2 shown]
	s_waitcnt lgkmcnt(4)
	v_lshrrev_b32_e32 v66, 16, v53
	s_waitcnt vmcnt(10)
	v_mul_f16_sdwa v129, v53, v117 dst_sel:DWORD dst_unused:UNUSED_PAD src0_sel:DWORD src1_sel:WORD_1
	v_lshrrev_b32_e32 v130, 16, v54
	s_waitcnt vmcnt(9)
	v_mul_f16_sdwa v131, v54, v118 dst_sel:DWORD dst_unused:UNUSED_PAD src0_sel:DWORD src1_sel:WORD_1
	s_waitcnt lgkmcnt(3)
	v_lshrrev_b32_e32 v132, 16, v63
	s_waitcnt vmcnt(8)
	v_mul_f16_sdwa v133, v63, v119 dst_sel:DWORD dst_unused:UNUSED_PAD src0_sel:DWORD src1_sel:WORD_1
	v_lshrrev_b32_e32 v134, 16, v64
	s_waitcnt vmcnt(7)
	v_mul_f16_sdwa v135, v64, v120 dst_sel:DWORD dst_unused:UNUSED_PAD src0_sel:DWORD src1_sel:WORD_1
	;; [unrolled: 7-line block ×3, first 2 shown]
	s_waitcnt lgkmcnt(1)
	v_lshrrev_b32_e32 v140, 16, v113
	s_waitcnt vmcnt(4)
	v_mul_f16_sdwa v141, v113, v123 dst_sel:DWORD dst_unused:UNUSED_PAD src0_sel:DWORD src1_sel:WORD_1
	v_lshrrev_b32_e32 v142, 16, v114
	v_mul_f16_sdwa v146, v66, v117 dst_sel:DWORD dst_unused:UNUSED_PAD src0_sel:DWORD src1_sel:WORD_1
	v_fma_f16 v66, v66, v117, v129
	v_mul_f16_sdwa v129, v130, v118 dst_sel:DWORD dst_unused:UNUSED_PAD src0_sel:DWORD src1_sel:WORD_1
	s_waitcnt vmcnt(3)
	v_mul_f16_sdwa v143, v114, v124 dst_sel:DWORD dst_unused:UNUSED_PAD src0_sel:DWORD src1_sel:WORD_1
	v_fma_f16 v130, v130, v118, v131
	v_mul_f16_sdwa v131, v132, v119 dst_sel:DWORD dst_unused:UNUSED_PAD src0_sel:DWORD src1_sel:WORD_1
	v_fma_f16 v132, v132, v119, v133
	;; [unrolled: 2-line block ×6, first 2 shown]
	v_mul_f16_sdwa v141, v142, v124 dst_sel:DWORD dst_unused:UNUSED_PAD src0_sel:DWORD src1_sel:WORD_1
	v_fma_f16 v53, v53, v117, -v146
	v_fma_f16 v54, v54, v118, -v129
	v_fma_f16 v142, v142, v124, v143
	v_fma_f16 v63, v63, v119, -v131
	v_fma_f16 v64, v64, v120, -v133
	;; [unrolled: 1-line block ×6, first 2 shown]
	v_pack_b32_f16 v53, v53, v66
	v_pack_b32_f16 v54, v54, v130
	;; [unrolled: 1-line block ×8, first 2 shown]
	ds_write2_b32 v56, v53, v54 offset0:3 offset1:138
	ds_write2_b32 v57, v63, v64 offset0:17 offset1:152
	ds_write2_b32 v58, v66, v111 offset0:31 offset1:166
	ds_write2_b32 v55, v112, v113 offset0:45 offset1:180
	ds_read_b32 v56, v67 offset:6948
	s_waitcnt lgkmcnt(5)
	v_lshrrev_b32_e32 v144, 16, v115
	v_lshrrev_b32_e32 v54, 16, v116
	s_waitcnt vmcnt(2)
	v_mul_f16_sdwa v145, v115, v125 dst_sel:DWORD dst_unused:UNUSED_PAD src0_sel:DWORD src1_sel:WORD_1
	v_mul_f16_sdwa v143, v144, v125 dst_sel:DWORD dst_unused:UNUSED_PAD src0_sel:DWORD src1_sel:WORD_1
	s_waitcnt vmcnt(1)
	v_mul_f16_sdwa v55, v54, v126 dst_sel:DWORD dst_unused:UNUSED_PAD src0_sel:DWORD src1_sel:WORD_1
	v_mul_f16_sdwa v57, v116, v126 dst_sel:DWORD dst_unused:UNUSED_PAD src0_sel:DWORD src1_sel:WORD_1
	v_fma_f16 v144, v144, v125, v145
	v_fma_f16 v115, v115, v125, -v143
	v_fma_f16 v55, v116, v126, -v55
	v_fma_f16 v54, v54, v126, v57
	v_pack_b32_f16 v53, v115, v144
	v_pack_b32_f16 v54, v55, v54
	ds_write2_b32 v127, v53, v54 offset0:59 offset1:194
	s_waitcnt lgkmcnt(1)
	v_lshrrev_b32_e32 v53, 16, v56
	s_waitcnt vmcnt(0)
	v_mul_f16_sdwa v54, v53, v128 dst_sel:DWORD dst_unused:UNUSED_PAD src0_sel:DWORD src1_sel:WORD_1
	v_mul_f16_sdwa v55, v56, v128 dst_sel:DWORD dst_unused:UNUSED_PAD src0_sel:DWORD src1_sel:WORD_1
	v_fma_f16 v54, v56, v128, -v54
	v_fma_f16 v53, v53, v128, v55
	v_pack_b32_f16 v53, v54, v53
	ds_write_b32 v67, v53 offset:6948
.LBB0_9:
	s_or_b64 exec, exec, s[2:3]
	s_waitcnt lgkmcnt(0)
	s_barrier
	ds_read2_b32 v[55:56], v67 offset1:135
	ds_read2_b32 v[63:64], v59 offset0:14 offset1:149
	ds_read2_b32 v[59:60], v60 offset0:28 offset1:163
	;; [unrolled: 1-line block ×5, first 2 shown]
	ds_read_b32 v111, v67 offset:6480
	v_lshrrev_b32_e32 v54, 16, v99
	s_and_saveexec_b64 s[2:3], s[0:1]
	s_cbranch_execz .LBB0_11
; %bb.10:
	v_add_u32_e32 v19, 0xe00, v67
	ds_read2_b32 v[53:54], v19 offset0:31 offset1:166
	v_add_u32_e32 v19, 0x1200, v67
	v_add_u32_e32 v15, 0x600, v67
	;; [unrolled: 1-line block ×3, first 2 shown]
	ds_read2_b32 v[21:22], v19 offset0:45 offset1:180
	v_add_u32_e32 v19, 0x1600, v67
	ds_read2_b32 v[51:52], v67 offset0:117 offset1:252
	ds_read2_b32 v[15:16], v15 offset0:3 offset1:138
	;; [unrolled: 1-line block ×4, first 2 shown]
	ds_read_b32 v89, v67 offset:6948
	s_mov_b32 s4, 0xffff
	s_waitcnt lgkmcnt(4)
	v_lshrrev_b32_e32 v109, 16, v51
	v_lshrrev_b32_e32 v110, 16, v52
	s_waitcnt lgkmcnt(3)
	v_lshrrev_b32_e32 v84, 16, v15
	v_lshrrev_b32_e32 v85, 16, v16
	s_waitcnt lgkmcnt(2)
	v_lshrrev_b32_e32 v86, 16, v17
	v_lshrrev_b32_e32 v87, 16, v18
	v_lshrrev_b32_e32 v99, 16, v53
	v_lshrrev_b32_e32 v100, 16, v54
	;; [unrolled: 1-line block ×4, first 2 shown]
	s_waitcnt lgkmcnt(1)
	v_lshrrev_b32_e32 v90, 16, v19
	v_lshrrev_b32_e32 v88, 16, v20
	s_waitcnt lgkmcnt(0)
	v_bfi_b32 v95, s4, v53, v89
.LBB0_11:
	s_or_b64 exec, exec, s[2:3]
	s_waitcnt lgkmcnt(6)
	v_pk_add_f16 v53, v55, v56
	s_waitcnt lgkmcnt(5)
	v_pk_add_f16 v53, v53, v63
	v_pk_add_f16 v53, v53, v64
	s_waitcnt lgkmcnt(4)
	v_pk_add_f16 v53, v53, v59
	;; [unrolled: 3-line block ×6, first 2 shown]
	v_pk_add_f16 v56, v56, v111 neg_lo:[0,1] neg_hi:[0,1]
	s_mov_b32 s12, 0xb770
	v_pk_add_f16 v53, v53, v111
	v_pk_mul_f16 v111, v56, s12 op_sel_hi:[1,0]
	s_movk_i32 s4, 0x3b15
	s_mov_b32 s13, 0xba95
	v_pk_add_f16 v131, v66, v63
	v_pk_add_f16 v63, v63, v66 neg_lo:[0,1] neg_hi:[0,1]
	v_pk_fma_f16 v113, v112, s4, v111 op_sel:[0,0,1] op_sel_hi:[1,0,0]
	v_pk_fma_f16 v111, v112, s4, v111 op_sel:[0,0,1] op_sel_hi:[1,0,0] neg_lo:[0,0,1] neg_hi:[0,0,1]
	s_mov_b32 s2, 0xffff
	s_movk_i32 s5, 0x388b
	v_pk_mul_f16 v66, v63, s13 op_sel_hi:[1,0]
	v_bfi_b32 v114, s2, v113, v111
	v_pk_fma_f16 v132, v131, s5, v66 op_sel:[0,0,1] op_sel_hi:[1,0,0]
	v_pk_fma_f16 v66, v131, s5, v66 op_sel:[0,0,1] op_sel_hi:[1,0,0] neg_lo:[0,0,1] neg_hi:[0,0,1]
	v_pk_add_f16 v114, v55, v114
	v_mul_f16_sdwa v115, v56, s13 dst_sel:DWORD dst_unused:UNUSED_PAD src0_sel:WORD_1 src1_sel:DWORD
	s_mov_b32 s17, 0xbb7b
	v_bfi_b32 v133, s2, v132, v66
	v_fma_f16 v116, v112, s5, v115
	s_mov_b32 s16, 0xb5ac
	v_pk_add_f16 v114, v133, v114
	v_mul_f16_sdwa v133, v63, s17 dst_sel:DWORD dst_unused:UNUSED_PAD src0_sel:WORD_1 src1_sel:DWORD
	v_add_f16_e32 v116, v55, v116
	v_mul_f16_sdwa v117, v112, s5 dst_sel:DWORD dst_unused:UNUSED_PAD src0_sel:WORD_1 src1_sel:DWORD
	s_movk_i32 s24, 0x3a95
	v_fma_f16 v115, v112, s5, -v115
	v_fma_f16 v134, v131, s16, v133
	v_fma_f16 v118, v56, s24, v117
	v_add_f16_e32 v115, v55, v115
	v_fma_f16 v117, v56, s13, v117
	s_mov_b32 s15, 0xbbf1
	v_add_f16_e32 v116, v134, v116
	v_mul_f16_sdwa v134, v131, s16 dst_sel:DWORD dst_unused:UNUSED_PAD src0_sel:WORD_1 src1_sel:DWORD
	v_fma_f16 v133, v131, s16, -v133
	v_add_f16_sdwa v117, v55, v117 dst_sel:DWORD dst_unused:UNUSED_PAD src0_sel:WORD_1 src1_sel:DWORD
	v_mul_f16_sdwa v119, v56, s15 dst_sel:DWORD dst_unused:UNUSED_PAD src0_sel:WORD_1 src1_sel:DWORD
	s_movk_i32 s14, 0x2fb7
	v_add_f16_e32 v115, v133, v115
	v_fma_f16 v133, v63, s17, v134
	s_mov_b32 s22, 0xb3a8
	v_fma_f16 v120, v112, s14, v119
	s_movk_i32 s25, 0x3b7b
	v_add_f16_e32 v117, v133, v117
	v_mul_f16_sdwa v133, v63, s22 dst_sel:DWORD dst_unused:UNUSED_PAD src0_sel:WORD_1 src1_sel:DWORD
	s_mov_b32 s21, 0xbbc4
	v_add_f16_e32 v120, v55, v120
	v_mul_f16_sdwa v121, v112, s14 dst_sel:DWORD dst_unused:UNUSED_PAD src0_sel:WORD_1 src1_sel:DWORD
	s_movk_i32 s20, 0x3bf1
	v_fma_f16 v119, v112, s14, -v119
	v_fma_f16 v135, v63, s25, v134
	v_fma_f16 v134, v131, s21, v133
	;; [unrolled: 1-line block ×3, first 2 shown]
	v_add_f16_e32 v119, v55, v119
	v_fma_f16 v121, v56, s15, v121
	v_add_f16_e32 v120, v134, v120
	v_mul_f16_sdwa v134, v131, s21 dst_sel:DWORD dst_unused:UNUSED_PAD src0_sel:WORD_1 src1_sel:DWORD
	v_fma_f16 v133, v131, s21, -v133
	v_add_f16_sdwa v121, v55, v121 dst_sel:DWORD dst_unused:UNUSED_PAD src0_sel:WORD_1 src1_sel:DWORD
	v_mul_f16_sdwa v123, v56, s17 dst_sel:DWORD dst_unused:UNUSED_PAD src0_sel:WORD_1 src1_sel:DWORD
	s_movk_i32 s23, 0x394e
	v_add_f16_e32 v119, v133, v119
	v_fma_f16 v133, v63, s22, v134
	v_add_f16_sdwa v118, v55, v118 dst_sel:DWORD dst_unused:UNUSED_PAD src0_sel:WORD_1 src1_sel:DWORD
	v_fma_f16 v124, v112, s16, v123
	s_mov_b32 s18, 0xb9fd
	s_movk_i32 s26, 0x33a8
	v_add_f16_e32 v121, v133, v121
	v_mul_f16_sdwa v133, v63, s23 dst_sel:DWORD dst_unused:UNUSED_PAD src0_sel:WORD_1 src1_sel:DWORD
	v_add_f16_e32 v124, v55, v124
	v_mul_f16_sdwa v125, v112, s16 dst_sel:DWORD dst_unused:UNUSED_PAD src0_sel:WORD_1 src1_sel:DWORD
	v_fma_f16 v123, v112, s16, -v123
	v_add_f16_e32 v118, v135, v118
	v_fma_f16 v135, v63, s26, v134
	v_fma_f16 v134, v131, s18, v133
	;; [unrolled: 1-line block ×3, first 2 shown]
	v_add_f16_e32 v123, v55, v123
	v_fma_f16 v125, v56, s17, v125
	s_mov_b32 s19, 0xb94e
	v_add_f16_e32 v124, v134, v124
	v_mul_f16_sdwa v134, v131, s18 dst_sel:DWORD dst_unused:UNUSED_PAD src0_sel:WORD_1 src1_sel:DWORD
	v_fma_f16 v133, v131, s18, -v133
	v_add_f16_sdwa v125, v55, v125 dst_sel:DWORD dst_unused:UNUSED_PAD src0_sel:WORD_1 src1_sel:DWORD
	v_mul_f16_sdwa v127, v56, s19 dst_sel:DWORD dst_unused:UNUSED_PAD src0_sel:WORD_1 src1_sel:DWORD
	v_add_f16_e32 v123, v133, v123
	v_fma_f16 v133, v63, s23, v134
	v_add_f16_sdwa v122, v55, v122 dst_sel:DWORD dst_unused:UNUSED_PAD src0_sel:WORD_1 src1_sel:DWORD
	v_fma_f16 v128, v112, s18, v127
	v_add_f16_e32 v125, v133, v125
	v_mul_f16_sdwa v133, v63, s20 dst_sel:DWORD dst_unused:UNUSED_PAD src0_sel:WORD_1 src1_sel:DWORD
	v_add_f16_e32 v128, v55, v128
	v_mul_f16_sdwa v129, v112, s18 dst_sel:DWORD dst_unused:UNUSED_PAD src0_sel:WORD_1 src1_sel:DWORD
	v_fma_f16 v127, v112, s18, -v127
	v_add_f16_e32 v122, v135, v122
	v_fma_f16 v135, v63, s19, v134
	v_fma_f16 v134, v131, s14, v133
	;; [unrolled: 1-line block ×3, first 2 shown]
	v_add_f16_e32 v127, v55, v127
	v_fma_f16 v129, v56, s19, v129
	v_add_f16_e32 v128, v134, v128
	v_mul_f16_sdwa v134, v131, s14 dst_sel:DWORD dst_unused:UNUSED_PAD src0_sel:WORD_1 src1_sel:DWORD
	v_fma_f16 v133, v131, s14, -v133
	v_add_f16_sdwa v129, v55, v129 dst_sel:DWORD dst_unused:UNUSED_PAD src0_sel:WORD_1 src1_sel:DWORD
	v_add_f16_e32 v127, v133, v127
	v_fma_f16 v133, v63, s20, v134
	v_add_f16_e32 v129, v133, v129
	v_pk_add_f16 v133, v65, v64
	v_pk_add_f16 v64, v64, v65 neg_lo:[0,1] neg_hi:[0,1]
	v_add_f16_sdwa v126, v55, v126 dst_sel:DWORD dst_unused:UNUSED_PAD src0_sel:WORD_1 src1_sel:DWORD
	v_pk_mul_f16 v65, v64, s15 op_sel_hi:[1,0]
	v_add_f16_sdwa v130, v55, v130 dst_sel:DWORD dst_unused:UNUSED_PAD src0_sel:WORD_1 src1_sel:DWORD
	v_add_f16_e32 v126, v135, v126
	v_fma_f16 v135, v63, s15, v134
	v_pk_fma_f16 v134, v133, s14, v65 op_sel:[0,0,1] op_sel_hi:[1,0,0]
	v_pk_fma_f16 v65, v133, s14, v65 op_sel:[0,0,1] op_sel_hi:[1,0,0] neg_lo:[0,0,1] neg_hi:[0,0,1]
	v_add_f16_e32 v130, v135, v130
	v_bfi_b32 v135, s2, v134, v65
	v_pk_add_f16 v114, v135, v114
	v_mul_f16_sdwa v135, v64, s22 dst_sel:DWORD dst_unused:UNUSED_PAD src0_sel:WORD_1 src1_sel:DWORD
	v_fma_f16 v136, v133, s21, v135
	v_add_f16_e32 v116, v136, v116
	v_mul_f16_sdwa v136, v133, s21 dst_sel:DWORD dst_unused:UNUSED_PAD src0_sel:WORD_1 src1_sel:DWORD
	v_fma_f16 v135, v133, s21, -v135
	v_add_f16_e32 v115, v135, v115
	v_fma_f16 v135, v64, s22, v136
	v_add_f16_e32 v117, v135, v117
	v_mul_f16_sdwa v135, v64, s25 dst_sel:DWORD dst_unused:UNUSED_PAD src0_sel:WORD_1 src1_sel:DWORD
	v_fma_f16 v137, v64, s26, v136
	v_fma_f16 v136, v133, s16, v135
	v_add_f16_e32 v120, v136, v120
	v_mul_f16_sdwa v136, v133, s16 dst_sel:DWORD dst_unused:UNUSED_PAD src0_sel:WORD_1 src1_sel:DWORD
	v_fma_f16 v135, v133, s16, -v135
	v_add_f16_e32 v119, v135, v119
	v_fma_f16 v135, v64, s25, v136
	v_add_f16_e32 v121, v135, v121
	v_mul_f16_sdwa v135, v64, s27 dst_sel:DWORD dst_unused:UNUSED_PAD src0_sel:WORD_1 src1_sel:DWORD
	v_add_f16_e32 v118, v137, v118
	v_fma_f16 v137, v64, s17, v136
	v_fma_f16 v136, v133, s4, v135
	v_add_f16_e32 v124, v136, v124
	v_mul_f16_sdwa v136, v133, s4 dst_sel:DWORD dst_unused:UNUSED_PAD src0_sel:WORD_1 src1_sel:DWORD
	v_fma_f16 v135, v133, s4, -v135
	v_add_f16_e32 v123, v135, v123
	v_fma_f16 v135, v64, s27, v136
	v_add_f16_e32 v125, v135, v125
	v_mul_f16_sdwa v135, v64, s13 dst_sel:DWORD dst_unused:UNUSED_PAD src0_sel:WORD_1 src1_sel:DWORD
	v_add_f16_e32 v122, v137, v122
	v_fma_f16 v137, v64, s12, v136
	v_fma_f16 v136, v133, s5, v135
	v_add_f16_e32 v128, v136, v128
	v_mul_f16_sdwa v136, v133, s5 dst_sel:DWORD dst_unused:UNUSED_PAD src0_sel:WORD_1 src1_sel:DWORD
	v_fma_f16 v135, v133, s5, -v135
	v_add_f16_e32 v127, v135, v127
	v_fma_f16 v135, v64, s13, v136
	v_add_f16_e32 v129, v135, v129
	v_pk_add_f16 v135, v62, v59
	v_pk_add_f16 v59, v59, v62 neg_lo:[0,1] neg_hi:[0,1]
	v_pk_mul_f16 v62, v59, s17 op_sel_hi:[1,0]
	v_add_f16_e32 v126, v137, v126
	v_fma_f16 v137, v64, s24, v136
	v_pk_fma_f16 v136, v135, s16, v62 op_sel:[0,0,1] op_sel_hi:[1,0,0]
	v_pk_fma_f16 v62, v135, s16, v62 op_sel:[0,0,1] op_sel_hi:[1,0,0] neg_lo:[0,0,1] neg_hi:[0,0,1]
	v_add_f16_e32 v130, v137, v130
	v_bfi_b32 v137, s2, v136, v62
	v_pk_add_f16 v114, v137, v114
	v_mul_f16_sdwa v137, v59, s23 dst_sel:DWORD dst_unused:UNUSED_PAD src0_sel:WORD_1 src1_sel:DWORD
	v_fma_f16 v138, v135, s18, v137
	v_add_f16_e32 v116, v138, v116
	v_mul_f16_sdwa v138, v135, s18 dst_sel:DWORD dst_unused:UNUSED_PAD src0_sel:WORD_1 src1_sel:DWORD
	v_fma_f16 v137, v135, s18, -v137
	v_add_f16_e32 v115, v137, v115
	v_fma_f16 v137, v59, s23, v138
	v_add_f16_e32 v117, v137, v117
	v_mul_f16_sdwa v137, v59, s27 dst_sel:DWORD dst_unused:UNUSED_PAD src0_sel:WORD_1 src1_sel:DWORD
	v_fma_f16 v139, v59, s19, v138
	v_fma_f16 v138, v135, s4, v137
	v_add_f16_e32 v120, v138, v120
	v_mul_f16_sdwa v138, v135, s4 dst_sel:DWORD dst_unused:UNUSED_PAD src0_sel:WORD_1 src1_sel:DWORD
	v_fma_f16 v137, v135, s4, -v137
	v_add_f16_e32 v119, v137, v119
	v_fma_f16 v137, v59, s27, v138
	v_add_f16_e32 v121, v137, v121
	v_mul_f16_sdwa v137, v59, s15 dst_sel:DWORD dst_unused:UNUSED_PAD src0_sel:WORD_1 src1_sel:DWORD
	v_add_f16_e32 v118, v139, v118
	v_fma_f16 v139, v59, s12, v138
	v_fma_f16 v138, v135, s14, v137
	v_add_f16_e32 v124, v138, v124
	v_mul_f16_sdwa v138, v135, s14 dst_sel:DWORD dst_unused:UNUSED_PAD src0_sel:WORD_1 src1_sel:DWORD
	v_fma_f16 v137, v135, s14, -v137
	v_add_f16_e32 v123, v137, v123
	v_fma_f16 v137, v59, s15, v138
	v_add_f16_e32 v125, v137, v125
	v_mul_f16_sdwa v137, v59, s26 dst_sel:DWORD dst_unused:UNUSED_PAD src0_sel:WORD_1 src1_sel:DWORD
	v_add_f16_e32 v122, v139, v122
	v_fma_f16 v139, v59, s20, v138
	v_fma_f16 v138, v135, s21, v137
	v_add_f16_e32 v128, v138, v128
	v_mul_f16_sdwa v138, v135, s21 dst_sel:DWORD dst_unused:UNUSED_PAD src0_sel:WORD_1 src1_sel:DWORD
	v_fma_f16 v137, v135, s21, -v137
	v_add_f16_e32 v127, v137, v127
	v_fma_f16 v137, v59, s26, v138
	v_add_f16_e32 v129, v137, v129
	v_pk_add_f16 v137, v61, v60
	v_pk_add_f16 v60, v60, v61 neg_lo:[0,1] neg_hi:[0,1]
	v_pk_mul_f16 v61, v60, s19 op_sel_hi:[1,0]
	;; [unrolled: 47-line block ×3, first 2 shown]
	v_add_f16_e32 v126, v141, v126
	v_fma_f16 v141, v60, s12, v140
	v_pk_fma_f16 v140, v139, s21, v58 op_sel:[0,0,1] op_sel_hi:[1,0,0]
	v_pk_fma_f16 v58, v139, s21, v58 op_sel:[0,0,1] op_sel_hi:[1,0,0] neg_lo:[0,0,1] neg_hi:[0,0,1]
	v_add_f16_e32 v130, v141, v130
	v_bfi_b32 v141, s2, v140, v58
	v_pk_add_f16 v114, v141, v114
	v_mul_f16_sdwa v141, v57, s27 dst_sel:DWORD dst_unused:UNUSED_PAD src0_sel:WORD_1 src1_sel:DWORD
	v_fma_f16 v142, v139, s4, v141
	v_add_f16_e32 v116, v142, v116
	v_mul_f16_sdwa v142, v139, s4 dst_sel:DWORD dst_unused:UNUSED_PAD src0_sel:WORD_1 src1_sel:DWORD
	v_fma_f16 v141, v139, s4, -v141
	v_add_f16_e32 v115, v141, v115
	v_fma_f16 v141, v57, s27, v142
	v_add_f16_e32 v117, v141, v117
	v_mul_f16_sdwa v141, v57, s19 dst_sel:DWORD dst_unused:UNUSED_PAD src0_sel:WORD_1 src1_sel:DWORD
	v_fma_f16 v143, v57, s12, v142
	v_fma_f16 v142, v139, s18, v141
	v_add_f16_e32 v120, v142, v120
	v_mul_f16_sdwa v142, v139, s18 dst_sel:DWORD dst_unused:UNUSED_PAD src0_sel:WORD_1 src1_sel:DWORD
	v_fma_f16 v141, v139, s18, -v141
	v_add_f16_e32 v119, v141, v119
	v_fma_f16 v141, v57, s19, v142
	v_add_f16_e32 v121, v141, v121
	v_mul_f16_sdwa v141, v57, s24 dst_sel:DWORD dst_unused:UNUSED_PAD src0_sel:WORD_1 src1_sel:DWORD
	v_add_f16_e32 v118, v143, v118
	v_fma_f16 v143, v57, s23, v142
	v_fma_f16 v142, v139, s5, v141
	v_add_f16_e32 v124, v142, v124
	v_mul_f16_sdwa v142, v139, s5 dst_sel:DWORD dst_unused:UNUSED_PAD src0_sel:WORD_1 src1_sel:DWORD
	v_fma_f16 v141, v139, s5, -v141
	v_add_f16_e32 v123, v141, v123
	v_fma_f16 v141, v57, s24, v142
	v_add_f16_e32 v125, v141, v125
	v_mul_f16_sdwa v141, v57, s17 dst_sel:DWORD dst_unused:UNUSED_PAD src0_sel:WORD_1 src1_sel:DWORD
	v_add_f16_e32 v122, v143, v122
	v_fma_f16 v143, v57, s13, v142
	v_fma_f16 v142, v139, s16, v141
	v_add_f16_e32 v128, v142, v128
	v_mul_f16_sdwa v142, v139, s16 dst_sel:DWORD dst_unused:UNUSED_PAD src0_sel:WORD_1 src1_sel:DWORD
	v_add_f16_e32 v126, v143, v126
	v_fma_f16 v143, v57, s25, v142
	s_barrier
	v_add_f16_e32 v130, v143, v130
	ds_write2_b32 v82, v53, v114 offset1:1
	v_pack_b32_f16 v53, v120, v122
	v_pack_b32_f16 v114, v116, v118
	ds_write2_b32 v82, v114, v53 offset0:2 offset1:3
	v_pack_b32_f16 v53, v128, v130
	v_pack_b32_f16 v114, v124, v126
	ds_write2_b32 v82, v114, v53 offset0:4 offset1:5
	v_pk_mul_f16 v53, v112, s21 op_sel_hi:[1,0]
	v_pk_fma_f16 v112, v56, s22, v53 op_sel:[0,0,1] op_sel_hi:[1,0,0]
	v_pk_fma_f16 v53, v56, s22, v53 op_sel:[0,0,1] op_sel_hi:[1,0,0] neg_lo:[1,0,0] neg_hi:[1,0,0]
	v_alignbit_b32 v56, s0, v55, 16
	v_alignbit_b32 v114, s0, v112, 16
	v_pk_add_f16 v56, v56, v112
	v_pk_mul_f16 v112, v131, s4 op_sel_hi:[1,0]
	v_pk_add_f16 v53, v55, v53 op_sel:[1,0] op_sel_hi:[0,1]
	v_pk_fma_f16 v116, v63, s27, v112 op_sel:[0,0,1] op_sel_hi:[1,0,0]
	v_pk_fma_f16 v63, v63, s27, v112 op_sel:[0,0,1] op_sel_hi:[1,0,0] neg_lo:[1,0,0] neg_hi:[1,0,0]
	v_pk_add_f16 v53, v63, v53
	v_pk_mul_f16 v63, v133, s18 op_sel_hi:[1,0]
	v_pk_fma_f16 v112, v64, s19, v63 op_sel:[0,0,1] op_sel_hi:[1,0,0]
	v_pk_fma_f16 v63, v64, s19, v63 op_sel:[0,0,1] op_sel_hi:[1,0,0] neg_lo:[1,0,0] neg_hi:[1,0,0]
	v_pk_add_f16 v53, v63, v53
	v_pk_mul_f16 v63, v135, s5 op_sel_hi:[1,0]
	v_pk_fma_f16 v64, v59, s24, v63 op_sel:[0,0,1] op_sel_hi:[1,0,0]
	v_pk_fma_f16 v59, v59, s24, v63 op_sel:[0,0,1] op_sel_hi:[1,0,0] neg_lo:[1,0,0] neg_hi:[1,0,0]
	v_pk_add_f16 v114, v55, v114
	v_alignbit_b32 v118, s0, v116, 16
	v_pk_add_f16 v53, v59, v53
	v_pk_mul_f16 v59, v137, s16 op_sel_hi:[1,0]
	v_pk_add_f16 v114, v118, v114
	v_pk_add_f16 v56, v116, v56
	v_alignbit_b32 v116, s0, v112, 16
	v_pk_fma_f16 v63, v60, s17, v59 op_sel:[0,0,1] op_sel_hi:[1,0,0]
	v_pk_fma_f16 v59, v60, s17, v59 op_sel:[0,0,1] op_sel_hi:[1,0,0] neg_lo:[1,0,0] neg_hi:[1,0,0]
	v_pk_add_f16 v114, v116, v114
	v_pk_add_f16 v56, v112, v56
	v_alignbit_b32 v112, s0, v64, 16
	v_pk_add_f16 v53, v59, v53
	v_pk_mul_f16 v59, v139, s14 op_sel_hi:[1,0]
	v_fma_f16 v141, v139, s16, -v141
	v_pk_add_f16 v112, v112, v114
	v_pk_add_f16 v56, v64, v56
	v_alignbit_b32 v64, s0, v63, 16
	v_pk_fma_f16 v60, v57, s20, v59 op_sel:[0,0,1] op_sel_hi:[1,0,0]
	v_add_f16_e32 v127, v141, v127
	v_fma_f16 v141, v57, s17, v142
	v_pk_add_f16 v64, v64, v112
	v_pk_add_f16 v56, v63, v56
	v_alignbit_b32 v63, s0, v60, 16
	v_pk_fma_f16 v57, v57, s20, v59 op_sel:[0,0,1] op_sel_hi:[1,0,0] neg_lo:[1,0,0] neg_hi:[1,0,0]
	v_pk_add_f16 v63, v63, v64
	v_pk_add_f16 v53, v57, v53
	;; [unrolled: 1-line block ×3, first 2 shown]
	v_add_f16_e32 v129, v141, v129
	v_alignbit_b32 v56, v56, v53, 16
	v_pack_b32_f16 v53, v63, v53
	ds_write2_b32 v82, v53, v56 offset0:6 offset1:7
	v_pack_b32_f16 v53, v123, v125
	v_pack_b32_f16 v56, v127, v129
	ds_write2_b32 v82, v56, v53 offset0:8 offset1:9
	v_pack_b32_f16 v53, v115, v117
	v_pack_b32_f16 v56, v119, v121
	ds_write2_b32 v82, v56, v53 offset0:10 offset1:11
	v_bfi_b32 v53, s2, v111, v113
	v_pk_add_f16 v53, v55, v53
	v_bfi_b32 v55, s2, v66, v132
	v_pk_add_f16 v53, v55, v53
	;; [unrolled: 2-line block ×6, first 2 shown]
	ds_write_b32 v82, v53 offset:48
	s_and_saveexec_b64 s[2:3], s[0:1]
	s_cbranch_execz .LBB0_13
; %bb.12:
	v_add_f16_sdwa v53, v95, v110 dst_sel:DWORD dst_unused:UNUSED_PAD src0_sel:WORD_1 src1_sel:DWORD
	v_mul_f16_e32 v55, 0xbbc4, v53
	v_sub_f16_e32 v56, v52, v89
	v_add_f16_e32 v58, v88, v84
	v_fma_f16 v57, v56, s26, v55
	v_mul_f16_e32 v59, 0x3b15, v58
	v_sub_f16_e32 v60, v15, v20
	v_add_f16_e32 v57, v109, v57
	v_fma_f16 v61, v60, s12, v59
	v_add_f16_e32 v57, v61, v57
	v_add_f16_e32 v61, v90, v85
	v_mul_f16_e32 v62, 0xb9fd, v61
	v_sub_f16_e32 v63, v16, v19
	v_fma_f16 v64, v63, s23, v62
	v_add_f16_e32 v57, v64, v57
	v_add_f16_e32 v64, v92, v86
	v_mul_f16_e32 v65, 0x388b, v64
	v_sub_f16_e32 v66, v17, v22
	;; [unrolled: 5-line block ×4, first 2 shown]
	v_fma_f16 v116, v115, s15, v114
	v_sub_f16_sdwa v117, v110, v95 dst_sel:DWORD dst_unused:UNUSED_PAD src0_sel:DWORD src1_sel:WORD_1
	v_add_f16_e32 v57, v116, v57
	v_add_f16_e32 v116, v89, v52
	v_mul_f16_e32 v118, 0xb3a8, v117
	v_sub_f16_e32 v121, v84, v88
	v_fma_f16 v119, v116, s21, v118
	v_add_f16_e32 v120, v20, v15
	v_mul_f16_e32 v122, 0x3770, v121
	v_add_f16_e32 v119, v51, v119
	v_fma_f16 v123, v120, s4, v122
	v_sub_f16_e32 v124, v85, v90
	v_add_f16_e32 v119, v123, v119
	v_add_f16_e32 v123, v19, v16
	v_mul_f16_e32 v125, 0xb94e, v124
	v_fma_f16 v126, v123, s18, v125
	v_sub_f16_e32 v127, v86, v92
	v_add_f16_e32 v119, v126, v119
	v_add_f16_e32 v126, v22, v17
	v_mul_f16_e32 v128, 0x3a95, v127
	;; [unrolled: 5-line block ×4, first 2 shown]
	v_fma_f16 v135, v132, s14, v134
	v_add_f16_e32 v119, v135, v119
	v_mul_f16_e32 v135, 0xb9fd, v53
	v_fma_f16 v136, v56, s23, v135
	v_mul_f16_e32 v137, 0x2fb7, v58
	v_add_f16_e32 v136, v109, v136
	v_fma_f16 v138, v60, s15, v137
	v_add_f16_e32 v136, v138, v136
	v_mul_f16_e32 v138, 0x388b, v61
	v_fma_f16 v139, v63, s24, v138
	v_add_f16_e32 v136, v139, v136
	v_mul_f16_e32 v139, 0xbbc4, v64
	v_fma_f16 v140, v66, s22, v139
	v_add_f16_e32 v136, v140, v136
	v_mul_f16_e32 v140, 0x3b15, v82
	v_fma_f16 v141, v112, s12, v140
	v_add_f16_e32 v136, v141, v136
	v_mul_f16_e32 v141, 0xb5ac, v113
	v_fma_f16 v142, v115, s25, v141
	v_add_f16_e32 v136, v142, v136
	v_mul_f16_e32 v142, 0xb94e, v117
	v_fma_f16 v143, v116, s18, v142
	v_mul_f16_e32 v144, 0x3bf1, v121
	v_add_f16_e32 v143, v51, v143
	v_fma_f16 v145, v120, s14, v144
	v_add_f16_e32 v143, v145, v143
	v_mul_f16_e32 v145, 0xba95, v124
	v_fma_f16 v146, v123, s5, v145
	v_add_f16_e32 v143, v146, v143
	v_mul_f16_e32 v146, 0x33a8, v127
	v_fma_f16 v147, v126, s21, v146
	v_add_f16_e32 v143, v147, v143
	v_mul_f16_e32 v147, 0x3770, v130
	v_fma_f16 v148, v129, s4, v147
	v_add_f16_e32 v143, v148, v143
	v_mul_f16_e32 v148, 0xbb7b, v133
	;; [unrolled: 18-line block ×3, first 2 shown]
	v_fma_f16 v156, v115, s13, v155
	v_add_f16_e32 v150, v156, v150
	v_mul_f16_e32 v156, 0xbb7b, v117
	v_fma_f16 v157, v116, s16, v156
	v_mul_f16_e32 v158, 0x394e, v121
	v_add_f16_e32 v157, v51, v157
	v_fma_f16 v159, v120, s18, v158
	v_add_f16_e32 v157, v159, v157
	v_mul_f16_e32 v159, 0x3770, v124
	v_fma_f16 v160, v123, s4, v159
	v_add_f16_e32 v157, v160, v157
	v_mul_f16_e32 v160, 0xbbf1, v127
	v_add_f16_e32 v52, v52, v51
	v_fma_f16 v161, v126, s14, v160
	v_add_f16_e32 v15, v15, v52
	v_add_f16_e32 v157, v161, v157
	v_mul_f16_e32 v161, 0x33a8, v130
	v_add_f16_e32 v15, v16, v15
	v_fma_f16 v162, v129, s21, v161
	v_add_f16_e32 v15, v17, v15
	v_fma_f16 v17, v56, s22, v55
	v_add_f16_e32 v157, v162, v157
	v_mul_f16_e32 v162, 0x3a95, v133
	v_add_f16_e32 v15, v18, v15
	v_add_f16_e32 v17, v109, v17
	v_fma_f16 v18, v60, s27, v59
	v_fma_f16 v163, v132, s5, v162
	v_add_f16_e32 v17, v18, v17
	v_fma_f16 v18, v63, s19, v62
	v_add_f16_e32 v157, v163, v157
	v_mul_f16_e32 v163, 0x2fb7, v53
	v_add_f16_e32 v15, v95, v15
	v_add_f16_e32 v17, v18, v17
	v_fma_f16 v18, v66, s24, v65
	v_fma_f16 v164, v56, s20, v163
	v_mul_f16_e32 v165, 0xbbc4, v58
	v_add_f16_e32 v15, v54, v15
	v_add_f16_e32 v17, v18, v17
	v_fma_f16 v18, v112, s17, v111
	v_add_f16_e32 v164, v109, v164
	v_fma_f16 v166, v60, s26, v165
	v_add_f16_e32 v15, v21, v15
	v_add_f16_e32 v17, v18, v17
	v_fma_f16 v18, v115, s20, v114
	v_add_f16_e32 v164, v166, v164
	v_mul_f16_e32 v166, 0xb5ac, v61
	v_add_f16_e32 v15, v22, v15
	v_add_f16_e32 v17, v18, v17
	v_fma_f16 v18, v116, s21, -v118
	v_fma_f16 v167, v63, s17, v166
	v_add_f16_e32 v15, v19, v15
	v_add_f16_e32 v18, v51, v18
	v_fma_f16 v19, v120, s4, -v122
	v_add_f16_e32 v164, v167, v164
	v_mul_f16_e32 v167, 0x3b15, v64
	v_add_f16_e32 v18, v19, v18
	v_fma_f16 v19, v123, s18, -v125
	v_fma_f16 v168, v66, s12, v167
	v_add_f16_e32 v18, v19, v18
	v_fma_f16 v19, v126, s5, -v128
	v_add_f16_e32 v164, v168, v164
	v_mul_f16_e32 v168, 0x388b, v82
	v_add_f16_e32 v18, v19, v18
	v_fma_f16 v19, v129, s16, -v131
	v_fma_f16 v169, v112, s24, v168
	v_add_f16_e32 v18, v19, v18
	v_fma_f16 v19, v132, s14, -v134
	v_add_f16_e32 v164, v169, v164
	v_mul_f16_e32 v169, 0xb9fd, v113
	v_add_f16_e32 v18, v19, v18
	v_fma_f16 v19, v56, s19, v135
	v_fma_f16 v170, v115, s23, v169
	v_add_f16_e32 v15, v20, v15
	v_add_f16_e32 v19, v109, v19
	v_fma_f16 v20, v60, s20, v137
	v_add_f16_e32 v164, v170, v164
	v_mul_f16_e32 v170, 0xbbf1, v117
	v_add_f16_e32 v19, v20, v19
	v_fma_f16 v20, v63, s13, v138
	v_fma_f16 v171, v116, s14, v170
	v_mul_f16_e32 v172, 0xb3a8, v121
	v_add_f16_e32 v19, v20, v19
	v_fma_f16 v20, v66, s26, v139
	v_add_f16_e32 v171, v51, v171
	v_fma_f16 v173, v120, s21, v172
	;; [unrolled: 2-line block ×3, first 2 shown]
	v_add_f16_e32 v171, v173, v171
	v_mul_f16_e32 v173, 0x3b7b, v124
	v_add_f16_e32 v19, v20, v19
	v_fma_f16 v20, v115, s17, v141
	v_fma_f16 v174, v123, s16, v173
	v_add_f16_e32 v19, v20, v19
	v_fma_f16 v20, v116, s18, -v142
	v_add_f16_e32 v171, v174, v171
	v_mul_f16_e32 v174, 0x3770, v127
	v_add_f16_e32 v20, v51, v20
	v_fma_f16 v21, v120, s14, -v144
	v_fma_f16 v175, v126, s4, v174
	v_add_f16_e32 v20, v21, v20
	v_fma_f16 v21, v123, s5, -v145
	v_add_f16_e32 v171, v175, v171
	v_mul_f16_e32 v175, 0xba95, v130
	v_add_f16_e32 v20, v21, v20
	v_fma_f16 v21, v126, s21, -v146
	;; [unrolled: 7-line block ×3, first 2 shown]
	v_fma_f16 v177, v132, s18, v176
	v_add_f16_e32 v20, v21, v20
	v_fma_f16 v21, v56, s17, v149
	v_add_f16_e32 v171, v177, v171
	v_mul_f16_e32 v177, 0x388b, v53
	v_add_f16_e32 v21, v109, v21
	v_fma_f16 v22, v60, s23, v151
	v_fma_f16 v178, v56, s24, v177
	v_mul_f16_e32 v179, 0xb5ac, v58
	v_add_f16_e32 v21, v22, v21
	v_fma_f16 v22, v63, s27, v152
	v_add_f16_e32 v178, v109, v178
	v_fma_f16 v180, v60, s25, v179
	;; [unrolled: 2-line block ×3, first 2 shown]
	v_add_f16_e32 v178, v180, v178
	v_mul_f16_e32 v180, 0xbbc4, v61
	v_add_f16_e32 v21, v22, v21
	v_fma_f16 v22, v112, s26, v154
	v_fma_f16 v181, v63, s26, v180
	v_add_f16_e32 v21, v22, v21
	v_fma_f16 v22, v115, s24, v155
	v_add_f16_e32 v178, v181, v178
	v_mul_f16_e32 v181, 0xb9fd, v64
	v_add_f16_e32 v21, v22, v21
	v_fma_f16 v22, v116, s16, -v156
	v_fma_f16 v182, v66, s19, v181
	v_add_f16_e32 v22, v51, v22
	v_fma_f16 v52, v120, s18, -v158
	v_add_f16_e32 v178, v182, v178
	v_mul_f16_e32 v182, 0x2fb7, v82
	v_add_f16_e32 v22, v52, v22
	v_fma_f16 v52, v123, s4, -v159
	v_fma_f16 v183, v112, s15, v182
	v_add_f16_e32 v22, v52, v22
	v_fma_f16 v52, v126, s14, -v160
	;; [unrolled: 7-line block ×3, first 2 shown]
	v_add_f16_e32 v178, v184, v178
	v_mul_f16_e32 v184, 0xba95, v117
	v_add_f16_e32 v22, v52, v22
	v_fma_f16 v52, v56, s15, v163
	v_fma_f16 v185, v116, s5, v184
	v_mul_f16_e32 v186, 0xbb7b, v121
	v_add_f16_e32 v52, v109, v52
	v_fma_f16 v54, v60, s22, v165
	v_add_f16_e32 v185, v51, v185
	v_fma_f16 v187, v120, s16, v186
	;; [unrolled: 2-line block ×3, first 2 shown]
	v_add_f16_e32 v185, v187, v185
	v_mul_f16_e32 v187, 0xb3a8, v124
	v_add_f16_e32 v52, v54, v52
	v_fma_f16 v54, v66, s27, v167
	v_fma_f16 v188, v123, s21, v187
	v_add_f16_e32 v52, v54, v52
	v_fma_f16 v54, v112, s13, v168
	v_add_f16_e32 v185, v188, v185
	v_mul_f16_e32 v188, 0x394e, v127
	v_add_f16_e32 v52, v54, v52
	v_fma_f16 v54, v115, s19, v169
	v_fma_f16 v189, v126, s18, v188
	v_add_f16_e32 v52, v54, v52
	v_fma_f16 v54, v116, s14, -v170
	v_add_f16_e32 v185, v189, v185
	v_mul_f16_e32 v189, 0x3bf1, v130
	v_add_f16_e32 v54, v51, v54
	v_fma_f16 v55, v120, s21, -v172
	v_fma_f16 v190, v129, s14, v189
	v_add_f16_e32 v54, v55, v54
	v_fma_f16 v55, v123, s16, -v173
	v_add_f16_e32 v185, v190, v185
	v_mul_f16_e32 v190, 0x3770, v133
	v_add_f16_e32 v54, v55, v54
	v_fma_f16 v55, v126, s4, -v174
	v_fma_f16 v191, v132, s4, v190
	v_mul_f16_e32 v53, 0x3b15, v53
	v_add_f16_e32 v54, v55, v54
	v_fma_f16 v55, v129, s5, -v175
	v_add_f16_e32 v185, v191, v185
	v_fma_f16 v191, v56, s27, v53
	v_mul_f16_e32 v58, 0x388b, v58
	v_add_f16_e32 v54, v55, v54
	v_fma_f16 v55, v132, s18, -v176
	v_add_f16_e32 v191, v109, v191
	v_fma_f16 v192, v60, s24, v58
	v_mul_f16_e32 v61, 0x2fb7, v61
	v_add_f16_e32 v16, v110, v109
	v_add_f16_e32 v54, v55, v54
	v_fma_f16 v55, v56, s13, v177
	v_fma_f16 v53, v56, s12, v53
	v_add_f16_e32 v191, v192, v191
	v_fma_f16 v192, v63, s20, v61
	v_mul_f16_e32 v64, 0xb5ac, v64
	v_add_f16_e32 v16, v84, v16
	v_add_f16_e32 v55, v109, v55
	v_fma_f16 v59, v60, s17, v179
	v_add_f16_e32 v53, v109, v53
	v_fma_f16 v56, v60, s13, v58
	v_add_f16_e32 v191, v192, v191
	v_fma_f16 v192, v66, s25, v64
	v_mul_f16_e32 v82, 0xb9fd, v82
	v_add_f16_e32 v16, v85, v16
	v_add_f16_e32 v55, v59, v55
	v_fma_f16 v59, v63, s22, v180
	v_add_f16_e32 v53, v56, v53
	;; [unrolled: 8-line block ×5, first 2 shown]
	v_fma_f16 v56, v115, s22, v113
	v_add_f16_e32 v192, v51, v192
	v_fma_f16 v193, v120, s5, v121
	v_mul_f16_e32 v124, 0xbbf1, v124
	v_add_f16_e32 v16, v100, v16
	v_add_f16_e32 v55, v59, v55
	v_fma_f16 v59, v116, s5, -v184
	v_add_f16_e32 v53, v56, v53
	v_fma_f16 v56, v116, s4, -v117
	v_add_f16_e32 v192, v193, v192
	v_fma_f16 v193, v123, s14, v124
	v_mul_f16_e32 v127, 0xbb7b, v127
	v_add_f16_e32 v16, v91, v16
	v_add_f16_e32 v59, v51, v59
	;; [unrolled: 1-line block ×3, first 2 shown]
	v_fma_f16 v56, v120, s5, -v121
	v_add_f16_e32 v192, v193, v192
	v_fma_f16 v193, v126, s16, v127
	v_mul_f16_e32 v130, 0xb94e, v130
	v_add_f16_e32 v16, v92, v16
	v_add_f16_e32 v51, v56, v51
	v_fma_f16 v56, v123, s14, -v124
	v_add_f16_e32 v192, v193, v192
	v_fma_f16 v193, v129, s18, v130
	v_mul_f16_e32 v133, 0xb3a8, v133
	v_add_f16_e32 v16, v90, v16
	v_add_f16_e32 v51, v56, v51
	v_fma_f16 v56, v126, s16, -v127
	v_add_f16_e32 v192, v193, v192
	v_fma_f16 v193, v132, s21, v133
	v_add_f16_e32 v16, v88, v16
	v_add_f16_e32 v51, v56, v51
	v_fma_f16 v56, v129, s18, -v130
	v_add_f16_e32 v192, v193, v192
	v_add_f16_e32 v15, v89, v15
	v_add_f16_sdwa v16, v95, v16 dst_sel:DWORD dst_unused:UNUSED_PAD src0_sel:WORD_1 src1_sel:DWORD
	v_fma_f16 v62, v120, s16, -v186
	v_add_f16_e32 v51, v56, v51
	v_fma_f16 v56, v132, s21, -v133
	v_add_f16_e32 v59, v62, v59
	;; [unrolled: 2-line block ×3, first 2 shown]
	v_lshlrev_b32_e32 v56, 2, v83
	v_pack_b32_f16 v58, v192, v191
	v_pack_b32_f16 v15, v15, v16
	v_add_f16_e32 v59, v62, v59
	v_fma_f16 v62, v126, s18, -v188
	ds_write2_b32 v56, v15, v58 offset1:1
	v_pack_b32_f16 v15, v171, v164
	v_pack_b32_f16 v16, v185, v178
	v_add_f16_e32 v59, v62, v59
	v_fma_f16 v62, v129, s14, -v189
	ds_write2_b32 v56, v16, v15 offset0:2 offset1:3
	v_pack_b32_f16 v15, v143, v136
	v_pack_b32_f16 v16, v157, v150
	v_add_f16_e32 v59, v62, v59
	v_fma_f16 v62, v132, s4, -v190
	ds_write2_b32 v56, v16, v15 offset0:4 offset1:5
	v_pack_b32_f16 v15, v18, v17
	v_pack_b32_f16 v16, v119, v57
	v_add_f16_e32 v59, v62, v59
	ds_write2_b32 v56, v16, v15 offset0:6 offset1:7
	v_pack_b32_f16 v15, v22, v21
	v_pack_b32_f16 v16, v20, v19
	ds_write2_b32 v56, v16, v15 offset0:8 offset1:9
	v_pack_b32_f16 v15, v59, v55
	v_pack_b32_f16 v16, v54, v52
	ds_write2_b32 v56, v16, v15 offset0:10 offset1:11
	v_pack_b32_f16 v15, v51, v53
	ds_write_b32 v56, v15 offset:48
.LBB0_13:
	s_or_b64 exec, exec, s[2:3]
	v_add_u32_e32 v18, 0x600, v67
	s_waitcnt lgkmcnt(0)
	s_barrier
	ds_read2_b32 v[51:52], v18 offset0:84 offset1:201
	v_add_u32_e32 v15, 0x1200, v67
	ds_read2_b32 v[53:54], v15 offset0:18 offset1:135
	v_add_u32_e32 v17, 0xa00, v67
	ds_read2_b32 v[55:56], v17 offset0:62 offset1:179
	s_waitcnt lgkmcnt(2)
	v_lshrrev_b32_e32 v64, 16, v52
	v_mul_f16_sdwa v99, v25, v64 dst_sel:DWORD dst_unused:UNUSED_PAD src0_sel:WORD_1 src1_sel:DWORD
	s_waitcnt lgkmcnt(1)
	v_lshrrev_b32_e32 v65, 16, v53
	v_fma_f16 v99, v25, v52, v99
	v_mul_f16_sdwa v52, v25, v52 dst_sel:DWORD dst_unused:UNUSED_PAD src0_sel:WORD_1 src1_sel:DWORD
	v_fma_f16 v25, v25, v64, -v52
	v_mul_f16_sdwa v52, v26, v65 dst_sel:DWORD dst_unused:UNUSED_PAD src0_sel:WORD_1 src1_sel:DWORD
	s_waitcnt lgkmcnt(0)
	v_lshrrev_b32_e32 v82, 16, v55
	v_add_u32_e32 v19, 0x1400, v67
	v_fma_f16 v52, v26, v53, v52
	v_mul_f16_sdwa v53, v26, v53 dst_sel:DWORD dst_unused:UNUSED_PAD src0_sel:WORD_1 src1_sel:DWORD
	ds_read2_b32 v[59:60], v19 offset0:124 offset1:241
	v_fma_f16 v26, v26, v65, -v53
	v_mul_f16_sdwa v53, v23, v82 dst_sel:DWORD dst_unused:UNUSED_PAD src0_sel:WORD_1 src1_sel:DWORD
	v_lshrrev_b32_e32 v83, 16, v54
	v_add_u32_e32 v16, 0xe00, v67
	v_fma_f16 v53, v23, v55, v53
	v_mul_f16_sdwa v55, v23, v55 dst_sel:DWORD dst_unused:UNUSED_PAD src0_sel:WORD_1 src1_sel:DWORD
	ds_read2_b32 v[61:62], v16 offset0:40 offset1:157
	v_fma_f16 v23, v23, v82, -v55
	v_mul_f16_sdwa v55, v24, v83 dst_sel:DWORD dst_unused:UNUSED_PAD src0_sel:WORD_1 src1_sel:DWORD
	v_lshrrev_b32_e32 v85, 16, v56
	v_fma_f16 v55, v24, v54, v55
	v_mul_f16_sdwa v54, v24, v54 dst_sel:DWORD dst_unused:UNUSED_PAD src0_sel:WORD_1 src1_sel:DWORD
	v_fma_f16 v24, v24, v83, -v54
	v_mul_f16_sdwa v54, v27, v85 dst_sel:DWORD dst_unused:UNUSED_PAD src0_sel:WORD_1 src1_sel:DWORD
	s_waitcnt lgkmcnt(1)
	v_lshrrev_b32_e32 v86, 16, v59
	v_fma_f16 v54, v27, v56, v54
	v_mul_f16_sdwa v56, v27, v56 dst_sel:DWORD dst_unused:UNUSED_PAD src0_sel:WORD_1 src1_sel:DWORD
	v_fma_f16 v27, v27, v85, -v56
	v_mul_f16_sdwa v56, v28, v86 dst_sel:DWORD dst_unused:UNUSED_PAD src0_sel:WORD_1 src1_sel:DWORD
	s_waitcnt lgkmcnt(0)
	v_lshrrev_b32_e32 v89, 16, v61
	v_fma_f16 v56, v28, v59, v56
	v_mul_f16_sdwa v59, v28, v59 dst_sel:DWORD dst_unused:UNUSED_PAD src0_sel:WORD_1 src1_sel:DWORD
	ds_read_b32 v88, v67 offset:6552
	v_fma_f16 v28, v28, v86, -v59
	v_mul_f16_sdwa v59, v29, v89 dst_sel:DWORD dst_unused:UNUSED_PAD src0_sel:WORD_1 src1_sel:DWORD
	v_lshrrev_b32_e32 v90, 16, v60
	v_fma_f16 v59, v29, v61, v59
	v_mul_f16_sdwa v61, v29, v61 dst_sel:DWORD dst_unused:UNUSED_PAD src0_sel:WORD_1 src1_sel:DWORD
	ds_read2_b32 v[21:22], v67 offset1:117
	v_fma_f16 v29, v29, v89, -v61
	v_mul_f16_sdwa v61, v30, v90 dst_sel:DWORD dst_unused:UNUSED_PAD src0_sel:WORD_1 src1_sel:DWORD
	v_lshrrev_b32_e32 v92, 16, v62
	v_fma_f16 v61, v30, v60, v61
	v_mul_f16_sdwa v60, v30, v60 dst_sel:DWORD dst_unused:UNUSED_PAD src0_sel:WORD_1 src1_sel:DWORD
	v_fma_f16 v30, v30, v90, -v60
	v_mul_f16_sdwa v60, v31, v92 dst_sel:DWORD dst_unused:UNUSED_PAD src0_sel:WORD_1 src1_sel:DWORD
	s_waitcnt lgkmcnt(1)
	v_lshrrev_b32_e32 v95, 16, v88
	v_fma_f16 v60, v31, v62, v60
	v_mul_f16_sdwa v62, v31, v62 dst_sel:DWORD dst_unused:UNUSED_PAD src0_sel:WORD_1 src1_sel:DWORD
	v_fma_f16 v31, v31, v92, -v62
	v_mul_f16_sdwa v62, v32, v95 dst_sel:DWORD dst_unused:UNUSED_PAD src0_sel:WORD_1 src1_sel:DWORD
	v_mul_f16_sdwa v64, v32, v88 dst_sel:DWORD dst_unused:UNUSED_PAD src0_sel:WORD_1 src1_sel:DWORD
	v_add_f16_e32 v65, v99, v52
	s_waitcnt lgkmcnt(0)
	v_lshrrev_b32_e32 v63, 16, v21
	v_add_u32_e32 v20, 0x200, v67
	v_fma_f16 v62, v32, v88, v62
	v_fma_f16 v32, v32, v95, -v64
	v_add_f16_e32 v64, v21, v99
	v_fma_f16 v21, v65, -0.5, v21
	v_sub_f16_e32 v65, v25, v26
	s_mov_b32 s2, 0xbaee
	s_movk_i32 s3, 0x3aee
	ds_read2_b32 v[57:58], v20 offset0:106 offset1:223
	v_fma_f16 v82, v65, s2, v21
	v_fma_f16 v21, v65, s3, v21
	v_add_f16_e32 v65, v63, v25
	v_add_f16_e32 v25, v25, v26
	;; [unrolled: 1-line block ×3, first 2 shown]
	v_fma_f16 v25, v25, -0.5, v63
	v_sub_f16_e32 v26, v99, v52
	v_add_f16_e32 v63, v53, v55
	v_lshrrev_b32_e32 v66, 16, v22
	v_add_f16_e32 v64, v64, v52
	v_fma_f16 v52, v26, s3, v25
	v_fma_f16 v25, v26, s2, v25
	v_add_f16_e32 v26, v22, v53
	v_fma_f16 v22, v63, -0.5, v22
	v_sub_f16_e32 v63, v23, v24
	v_fma_f16 v83, v63, s2, v22
	v_fma_f16 v22, v63, s3, v22
	v_add_f16_e32 v63, v66, v23
	v_add_f16_e32 v23, v23, v24
	;; [unrolled: 1-line block ×4, first 2 shown]
	v_fma_f16 v23, v23, -0.5, v66
	v_sub_f16_e32 v24, v53, v55
	v_add_f16_e32 v55, v54, v56
	s_waitcnt lgkmcnt(0)
	v_lshrrev_b32_e32 v84, 16, v57
	v_fma_f16 v53, v24, s3, v23
	v_fma_f16 v23, v24, s2, v23
	v_add_f16_e32 v24, v57, v54
	v_fma_f16 v55, v55, -0.5, v57
	v_sub_f16_e32 v57, v27, v28
	v_fma_f16 v66, v57, s2, v55
	v_fma_f16 v55, v57, s3, v55
	v_add_f16_e32 v57, v84, v27
	v_add_f16_e32 v27, v27, v28
	;; [unrolled: 1-line block ×4, first 2 shown]
	v_fma_f16 v27, v27, -0.5, v84
	v_sub_f16_e32 v28, v54, v56
	v_add_f16_e32 v56, v59, v61
	v_lshrrev_b32_e32 v87, 16, v58
	v_fma_f16 v54, v28, s3, v27
	v_fma_f16 v27, v28, s2, v27
	v_add_f16_e32 v28, v58, v59
	v_fma_f16 v56, v56, -0.5, v58
	v_sub_f16_e32 v58, v29, v30
	v_fma_f16 v84, v58, s2, v56
	v_fma_f16 v56, v58, s3, v56
	v_add_f16_e32 v58, v87, v29
	v_add_f16_e32 v29, v29, v30
	;; [unrolled: 1-line block ×4, first 2 shown]
	v_fma_f16 v29, v29, -0.5, v87
	v_sub_f16_e32 v30, v59, v61
	v_add_f16_e32 v61, v60, v62
	v_lshrrev_b32_e32 v91, 16, v51
	v_fma_f16 v59, v30, s3, v29
	v_fma_f16 v29, v30, s2, v29
	v_add_f16_e32 v30, v51, v60
	v_fma_f16 v51, v61, -0.5, v51
	v_sub_f16_e32 v61, v31, v32
	v_fma_f16 v85, v61, s2, v51
	v_fma_f16 v51, v61, s3, v51
	v_add_f16_e32 v61, v91, v31
	v_add_f16_e32 v31, v31, v32
	;; [unrolled: 1-line block ×3, first 2 shown]
	v_fma_f16 v31, v31, -0.5, v91
	v_sub_f16_e32 v32, v60, v62
	v_pack_b32_f16 v21, v21, v25
	v_fma_f16 v60, v32, s3, v31
	v_fma_f16 v31, v32, s2, v31
	s_barrier
	v_pack_b32_f16 v32, v64, v65
	v_pack_b32_f16 v52, v82, v52
	ds_write_b32 v93, v21 offset:104
	v_pack_b32_f16 v21, v26, v63
	v_pack_b32_f16 v25, v83, v53
	ds_write2_b32 v93, v32, v52 offset1:13
	ds_write2_b32 v94, v21, v25 offset1:13
	v_pack_b32_f16 v21, v22, v23
	ds_write_b32 v94, v21 offset:104
	v_pack_b32_f16 v21, v24, v57
	v_pack_b32_f16 v22, v66, v54
	ds_write2_b32 v96, v21, v22 offset1:13
	v_pack_b32_f16 v21, v55, v27
	ds_write_b32 v96, v21 offset:104
	v_pack_b32_f16 v21, v28, v58
	v_pack_b32_f16 v22, v84, v59
	v_add_f16_e32 v30, v30, v62
	ds_write2_b32 v97, v21, v22 offset1:13
	v_pack_b32_f16 v21, v56, v29
	ds_write_b32 v97, v21 offset:104
	v_pack_b32_f16 v21, v30, v61
	v_pack_b32_f16 v22, v85, v60
	ds_write2_b32 v98, v21, v22 offset1:13
	v_pack_b32_f16 v21, v51, v31
	ds_write_b32 v98, v21 offset:104
	s_waitcnt lgkmcnt(0)
	s_barrier
	ds_read2_b32 v[21:22], v67 offset1:117
	ds_read2_b32 v[23:24], v18 offset0:84 offset1:201
	ds_read2_b32 v[25:26], v15 offset0:18 offset1:135
	;; [unrolled: 1-line block ×5, first 2 shown]
	s_waitcnt lgkmcnt(4)
	v_lshrrev_b32_e32 v54, 16, v24
	v_mul_f16_sdwa v84, v33, v54 dst_sel:DWORD dst_unused:UNUSED_PAD src0_sel:WORD_1 src1_sel:DWORD
	s_waitcnt lgkmcnt(3)
	v_lshrrev_b32_e32 v55, 16, v25
	v_fma_f16 v84, v33, v24, v84
	v_mul_f16_sdwa v24, v33, v24 dst_sel:DWORD dst_unused:UNUSED_PAD src0_sel:WORD_1 src1_sel:DWORD
	v_fma_f16 v24, v33, v54, -v24
	v_mul_f16_sdwa v33, v34, v55 dst_sel:DWORD dst_unused:UNUSED_PAD src0_sel:WORD_1 src1_sel:DWORD
	s_waitcnt lgkmcnt(2)
	v_lshrrev_b32_e32 v57, 16, v27
	v_fma_f16 v33, v34, v25, v33
	v_mul_f16_sdwa v25, v34, v25 dst_sel:DWORD dst_unused:UNUSED_PAD src0_sel:WORD_1 src1_sel:DWORD
	v_fma_f16 v25, v34, v55, -v25
	v_mul_f16_sdwa v34, v37, v57 dst_sel:DWORD dst_unused:UNUSED_PAD src0_sel:WORD_1 src1_sel:DWORD
	v_lshrrev_b32_e32 v58, 16, v26
	v_fma_f16 v34, v37, v27, v34
	v_mul_f16_sdwa v27, v37, v27 dst_sel:DWORD dst_unused:UNUSED_PAD src0_sel:WORD_1 src1_sel:DWORD
	v_fma_f16 v27, v37, v57, -v27
	v_mul_f16_sdwa v37, v38, v58 dst_sel:DWORD dst_unused:UNUSED_PAD src0_sel:WORD_1 src1_sel:DWORD
	;; [unrolled: 5-line block ×3, first 2 shown]
	s_waitcnt lgkmcnt(1)
	v_lshrrev_b32_e32 v61, 16, v31
	v_fma_f16 v38, v35, v28, v38
	v_mul_f16_sdwa v28, v35, v28 dst_sel:DWORD dst_unused:UNUSED_PAD src0_sel:WORD_1 src1_sel:DWORD
	v_fma_f16 v28, v35, v60, -v28
	v_mul_f16_sdwa v35, v36, v61 dst_sel:DWORD dst_unused:UNUSED_PAD src0_sel:WORD_1 src1_sel:DWORD
	s_waitcnt lgkmcnt(0)
	v_lshrrev_b32_e32 v64, 16, v51
	v_fma_f16 v35, v36, v31, v35
	v_mul_f16_sdwa v31, v36, v31 dst_sel:DWORD dst_unused:UNUSED_PAD src0_sel:WORD_1 src1_sel:DWORD
	ds_read_b32 v63, v67 offset:6552
	v_fma_f16 v31, v36, v61, -v31
	v_mul_f16_sdwa v36, v39, v64 dst_sel:DWORD dst_unused:UNUSED_PAD src0_sel:WORD_1 src1_sel:DWORD
	v_lshrrev_b32_e32 v65, 16, v32
	v_fma_f16 v36, v39, v51, v36
	v_mul_f16_sdwa v51, v39, v51 dst_sel:DWORD dst_unused:UNUSED_PAD src0_sel:WORD_1 src1_sel:DWORD
	v_fma_f16 v39, v39, v64, -v51
	v_mul_f16_sdwa v51, v40, v65 dst_sel:DWORD dst_unused:UNUSED_PAD src0_sel:WORD_1 src1_sel:DWORD
	v_lshrrev_b32_e32 v82, 16, v52
	v_fma_f16 v51, v40, v32, v51
	v_mul_f16_sdwa v32, v40, v32 dst_sel:DWORD dst_unused:UNUSED_PAD src0_sel:WORD_1 src1_sel:DWORD
	v_fma_f16 v32, v40, v65, -v32
	v_mul_f16_sdwa v40, v41, v82 dst_sel:DWORD dst_unused:UNUSED_PAD src0_sel:WORD_1 src1_sel:DWORD
	s_waitcnt lgkmcnt(0)
	v_lshrrev_b32_e32 v83, 16, v63
	v_fma_f16 v40, v41, v52, v40
	v_mul_f16_sdwa v52, v41, v52 dst_sel:DWORD dst_unused:UNUSED_PAD src0_sel:WORD_1 src1_sel:DWORD
	v_fma_f16 v41, v41, v82, -v52
	v_mul_f16_sdwa v52, v42, v83 dst_sel:DWORD dst_unused:UNUSED_PAD src0_sel:WORD_1 src1_sel:DWORD
	v_mul_f16_sdwa v54, v42, v63 dst_sel:DWORD dst_unused:UNUSED_PAD src0_sel:WORD_1 src1_sel:DWORD
	v_add_f16_e32 v55, v84, v33
	v_lshrrev_b32_e32 v53, 16, v21
	v_fma_f16 v52, v42, v63, v52
	v_fma_f16 v42, v42, v83, -v54
	v_add_f16_e32 v54, v21, v84
	v_fma_f16 v21, v55, -0.5, v21
	v_sub_f16_e32 v55, v24, v25
	v_fma_f16 v57, v55, s2, v21
	v_fma_f16 v21, v55, s3, v21
	v_add_f16_e32 v55, v53, v24
	v_add_f16_e32 v24, v24, v25
	ds_read2_b32 v[29:30], v20 offset0:106 offset1:223
	v_add_f16_e32 v55, v55, v25
	v_fma_f16 v24, v24, -0.5, v53
	v_sub_f16_e32 v25, v84, v33
	v_add_f16_e32 v53, v34, v37
	v_lshrrev_b32_e32 v56, 16, v22
	v_add_f16_e32 v54, v54, v33
	v_fma_f16 v33, v25, s3, v24
	v_fma_f16 v24, v25, s2, v24
	v_add_f16_e32 v25, v22, v34
	v_fma_f16 v22, v53, -0.5, v22
	v_sub_f16_e32 v53, v27, v26
	v_fma_f16 v58, v53, s2, v22
	v_fma_f16 v22, v53, s3, v22
	v_add_f16_e32 v53, v56, v27
	v_add_f16_e32 v53, v53, v26
	;; [unrolled: 1-line block ×4, first 2 shown]
	v_fma_f16 v26, v26, -0.5, v56
	v_sub_f16_e32 v27, v34, v37
	v_add_f16_e32 v37, v38, v35
	s_waitcnt lgkmcnt(0)
	v_lshrrev_b32_e32 v59, 16, v29
	v_fma_f16 v34, v27, s3, v26
	v_fma_f16 v26, v27, s2, v26
	v_add_f16_e32 v27, v29, v38
	v_fma_f16 v29, v37, -0.5, v29
	v_sub_f16_e32 v37, v28, v31
	v_fma_f16 v56, v37, s2, v29
	v_fma_f16 v29, v37, s3, v29
	v_add_f16_e32 v37, v59, v28
	v_add_f16_e32 v28, v28, v31
	v_add_f16_e32 v37, v37, v31
	v_fma_f16 v28, v28, -0.5, v59
	v_sub_f16_e32 v31, v38, v35
	v_add_f16_e32 v38, v36, v51
	v_lshrrev_b32_e32 v62, 16, v30
	v_add_f16_e32 v27, v27, v35
	v_fma_f16 v35, v31, s3, v28
	v_fma_f16 v28, v31, s2, v28
	v_add_f16_e32 v31, v30, v36
	v_fma_f16 v30, v38, -0.5, v30
	v_sub_f16_e32 v38, v39, v32
	v_fma_f16 v59, v38, s2, v30
	v_fma_f16 v30, v38, s3, v30
	v_add_f16_e32 v38, v62, v39
	v_add_f16_e32 v38, v38, v32
	v_add_f16_e32 v32, v39, v32
	v_add_f16_e32 v31, v31, v51
	v_fma_f16 v32, v32, -0.5, v62
	v_sub_f16_e32 v36, v36, v51
	v_add_f16_e32 v51, v40, v52
	v_lshrrev_b32_e32 v66, 16, v23
	v_fma_f16 v39, v36, s3, v32
	v_fma_f16 v32, v36, s2, v32
	v_add_f16_e32 v36, v23, v40
	v_fma_f16 v23, v51, -0.5, v23
	v_sub_f16_e32 v51, v41, v42
	v_fma_f16 v60, v51, s2, v23
	v_fma_f16 v23, v51, s3, v23
	v_add_f16_e32 v51, v66, v41
	v_add_f16_e32 v41, v41, v42
	v_fma_f16 v41, v41, -0.5, v66
	v_sub_f16_e32 v40, v40, v52
	v_pack_b32_f16 v21, v21, v24
	v_add_f16_e32 v51, v51, v42
	v_fma_f16 v42, v40, s3, v41
	v_fma_f16 v40, v40, s2, v41
	s_barrier
	v_pack_b32_f16 v41, v54, v55
	v_pack_b32_f16 v33, v57, v33
	ds_write_b32 v101, v21 offset:312
	v_pack_b32_f16 v21, v25, v53
	v_pack_b32_f16 v24, v58, v34
	ds_write2_b32 v101, v41, v33 offset1:39
	ds_write2_b32 v102, v21, v24 offset1:39
	v_pack_b32_f16 v21, v22, v26
	ds_write_b32 v102, v21 offset:312
	v_pack_b32_f16 v21, v27, v37
	v_pack_b32_f16 v22, v56, v35
	ds_write2_b32 v103, v21, v22 offset1:39
	v_pack_b32_f16 v21, v29, v28
	ds_write_b32 v103, v21 offset:312
	v_pack_b32_f16 v21, v31, v38
	v_pack_b32_f16 v22, v59, v39
	v_add_f16_e32 v36, v36, v52
	ds_write2_b32 v104, v21, v22 offset1:39
	v_pack_b32_f16 v21, v30, v32
	ds_write_b32 v104, v21 offset:312
	v_pack_b32_f16 v21, v36, v51
	v_pack_b32_f16 v22, v60, v42
	ds_write2_b32 v105, v21, v22 offset1:39
	v_pack_b32_f16 v21, v23, v40
	ds_write_b32 v105, v21 offset:312
	s_waitcnt lgkmcnt(0)
	s_barrier
	ds_read2_b32 v[21:22], v67 offset1:117
	ds_read2_b32 v[23:24], v18 offset0:84 offset1:201
	ds_read2_b32 v[25:26], v15 offset0:18 offset1:135
	;; [unrolled: 1-line block ×5, first 2 shown]
	s_waitcnt lgkmcnt(4)
	v_lshrrev_b32_e32 v36, 16, v24
	v_mul_f16_sdwa v59, v43, v36 dst_sel:DWORD dst_unused:UNUSED_PAD src0_sel:WORD_1 src1_sel:DWORD
	s_waitcnt lgkmcnt(3)
	v_lshrrev_b32_e32 v37, 16, v25
	v_fma_f16 v59, v43, v24, v59
	v_mul_f16_sdwa v24, v43, v24 dst_sel:DWORD dst_unused:UNUSED_PAD src0_sel:WORD_1 src1_sel:DWORD
	v_fma_f16 v24, v43, v36, -v24
	v_mul_f16_sdwa v36, v44, v37 dst_sel:DWORD dst_unused:UNUSED_PAD src0_sel:WORD_1 src1_sel:DWORD
	s_waitcnt lgkmcnt(2)
	v_lshrrev_b32_e32 v39, 16, v27
	v_fma_f16 v36, v44, v25, v36
	v_mul_f16_sdwa v25, v44, v25 dst_sel:DWORD dst_unused:UNUSED_PAD src0_sel:WORD_1 src1_sel:DWORD
	v_fma_f16 v25, v44, v37, -v25
	v_mul_f16_sdwa v37, v43, v39 dst_sel:DWORD dst_unused:UNUSED_PAD src0_sel:WORD_1 src1_sel:DWORD
	v_lshrrev_b32_e32 v40, 16, v26
	v_fma_f16 v37, v43, v27, v37
	v_mul_f16_sdwa v27, v43, v27 dst_sel:DWORD dst_unused:UNUSED_PAD src0_sel:WORD_1 src1_sel:DWORD
	v_fma_f16 v27, v43, v39, -v27
	v_mul_f16_sdwa v39, v44, v40 dst_sel:DWORD dst_unused:UNUSED_PAD src0_sel:WORD_1 src1_sel:DWORD
	v_lshrrev_b32_e32 v42, 16, v28
	ds_read_b32 v53, v67 offset:6552
	v_fma_f16 v39, v44, v26, v39
	v_mul_f16_sdwa v26, v44, v26 dst_sel:DWORD dst_unused:UNUSED_PAD src0_sel:WORD_1 src1_sel:DWORD
	v_fma_f16 v26, v44, v40, -v26
	v_mul_f16_sdwa v40, v45, v42 dst_sel:DWORD dst_unused:UNUSED_PAD src0_sel:WORD_1 src1_sel:DWORD
	s_waitcnt lgkmcnt(2)
	v_lshrrev_b32_e32 v57, 16, v34
	v_fma_f16 v40, v45, v28, v40
	v_mul_f16_sdwa v28, v45, v28 dst_sel:DWORD dst_unused:UNUSED_PAD src0_sel:WORD_1 src1_sel:DWORD
	s_waitcnt lgkmcnt(1)
	v_lshrrev_b32_e32 v51, 16, v31
	v_lshrrev_b32_e32 v54, 16, v33
	;; [unrolled: 1-line block ×3, first 2 shown]
	v_fma_f16 v28, v45, v42, -v28
	v_mul_f16_sdwa v45, v49, v57 dst_sel:DWORD dst_unused:UNUSED_PAD src0_sel:WORD_1 src1_sel:DWORD
	v_mul_f16_sdwa v42, v46, v51 dst_sel:DWORD dst_unused:UNUSED_PAD src0_sel:WORD_1 src1_sel:DWORD
	;; [unrolled: 1-line block ×4, first 2 shown]
	v_fma_f16 v45, v49, v34, v45
	v_mul_f16_sdwa v34, v49, v34 dst_sel:DWORD dst_unused:UNUSED_PAD src0_sel:WORD_1 src1_sel:DWORD
	s_waitcnt lgkmcnt(0)
	v_lshrrev_b32_e32 v58, 16, v53
	v_fma_f16 v42, v46, v31, v42
	v_mul_f16_sdwa v31, v46, v31 dst_sel:DWORD dst_unused:UNUSED_PAD src0_sel:WORD_1 src1_sel:DWORD
	v_fma_f16 v43, v47, v33, v43
	v_mul_f16_sdwa v33, v47, v33 dst_sel:DWORD dst_unused:UNUSED_PAD src0_sel:WORD_1 src1_sel:DWORD
	;; [unrolled: 2-line block ×3, first 2 shown]
	v_fma_f16 v34, v49, v57, -v34
	v_add_f16_e32 v49, v59, v36
	v_lshrrev_b32_e32 v35, 16, v21
	v_fma_f16 v31, v46, v51, -v31
	v_fma_f16 v33, v47, v54, -v33
	;; [unrolled: 1-line block ×3, first 2 shown]
	v_mul_f16_sdwa v46, v50, v58 dst_sel:DWORD dst_unused:UNUSED_PAD src0_sel:WORD_1 src1_sel:DWORD
	v_mul_f16_sdwa v47, v50, v53 dst_sel:DWORD dst_unused:UNUSED_PAD src0_sel:WORD_1 src1_sel:DWORD
	v_add_f16_e32 v48, v21, v59
	v_fma_f16 v21, v49, -0.5, v21
	v_sub_f16_e32 v49, v24, v25
	v_fma_f16 v46, v50, v53, v46
	v_fma_f16 v47, v50, v58, -v47
	v_fma_f16 v50, v49, s2, v21
	v_fma_f16 v21, v49, s3, v21
	v_add_f16_e32 v49, v35, v24
	v_add_f16_e32 v24, v24, v25
	ds_read2_b32 v[29:30], v20 offset0:106 offset1:223
	v_add_f16_e32 v48, v48, v36
	v_add_f16_e32 v49, v49, v25
	v_fma_f16 v24, v24, -0.5, v35
	v_sub_f16_e32 v25, v59, v36
	v_add_f16_e32 v36, v37, v39
	v_lshrrev_b32_e32 v38, 16, v22
	v_fma_f16 v35, v25, s3, v24
	v_fma_f16 v24, v25, s2, v24
	v_add_f16_e32 v25, v22, v37
	v_fma_f16 v22, v36, -0.5, v22
	v_sub_f16_e32 v36, v27, v26
	v_fma_f16 v51, v36, s2, v22
	v_fma_f16 v22, v36, s3, v22
	v_add_f16_e32 v36, v38, v27
	v_add_f16_e32 v36, v36, v26
	v_add_f16_e32 v26, v27, v26
	v_fma_f16 v26, v26, -0.5, v38
	v_sub_f16_e32 v27, v37, v39
	v_add_f16_e32 v38, v40, v42
	s_waitcnt lgkmcnt(0)
	v_lshrrev_b32_e32 v41, 16, v29
	v_fma_f16 v37, v27, s3, v26
	v_fma_f16 v26, v27, s2, v26
	v_add_f16_e32 v27, v29, v40
	v_fma_f16 v29, v38, -0.5, v29
	v_sub_f16_e32 v38, v28, v31
	v_add_f16_e32 v25, v25, v39
	v_fma_f16 v39, v38, s2, v29
	v_fma_f16 v29, v38, s3, v29
	v_add_f16_e32 v38, v41, v28
	v_add_f16_e32 v28, v28, v31
	;; [unrolled: 1-line block ×3, first 2 shown]
	v_fma_f16 v28, v28, -0.5, v41
	v_sub_f16_e32 v31, v40, v42
	v_add_f16_e32 v41, v43, v44
	v_lshrrev_b32_e32 v52, 16, v30
	v_fma_f16 v40, v31, s3, v28
	v_fma_f16 v28, v31, s2, v28
	v_add_f16_e32 v31, v30, v43
	v_fma_f16 v30, v41, -0.5, v30
	v_sub_f16_e32 v41, v33, v32
	v_add_f16_e32 v27, v27, v42
	v_fma_f16 v42, v41, s2, v30
	v_fma_f16 v30, v41, s3, v30
	v_add_f16_e32 v41, v52, v33
	v_add_f16_e32 v41, v41, v32
	;; [unrolled: 1-line block ×4, first 2 shown]
	v_fma_f16 v32, v32, -0.5, v52
	v_sub_f16_e32 v33, v43, v44
	v_add_f16_e32 v44, v45, v46
	v_lshrrev_b32_e32 v56, 16, v23
	v_fma_f16 v43, v33, s3, v32
	v_fma_f16 v32, v33, s2, v32
	v_add_f16_e32 v33, v23, v45
	v_fma_f16 v23, v44, -0.5, v23
	v_sub_f16_e32 v44, v34, v47
	v_fma_f16 v52, v44, s2, v23
	v_fma_f16 v23, v44, s3, v23
	v_add_f16_e32 v44, v56, v34
	v_add_f16_e32 v34, v34, v47
	v_pack_b32_f16 v21, v21, v24
	v_pack_b32_f16 v24, v25, v36
	v_fma_f16 v34, v34, -0.5, v56
	v_sub_f16_e32 v45, v45, v46
	s_barrier
	ds_write2_b32 v20, v21, v24 offset0:106 offset1:223
	v_pack_b32_f16 v21, v51, v37
	v_pack_b32_f16 v22, v22, v26
	v_add_f16_e32 v33, v33, v46
	v_fma_f16 v46, v45, s3, v34
	v_fma_f16 v34, v45, s2, v34
	v_pack_b32_f16 v45, v48, v49
	v_pack_b32_f16 v35, v50, v35
	ds_write2_b32 v18, v21, v22 offset0:84 offset1:201
	v_pack_b32_f16 v21, v27, v38
	v_pack_b32_f16 v22, v39, v40
	v_add_u32_e32 v24, 0xa00, v106
	ds_write2_b32 v67, v45, v35 offset1:117
	ds_write2_b32 v24, v21, v22 offset0:62 offset1:179
	v_pack_b32_f16 v21, v29, v28
	ds_write_b32 v106, v21 offset:3744
	v_pack_b32_f16 v21, v31, v41
	v_pack_b32_f16 v22, v42, v43
	v_add_u32_e32 v24, 0x1000, v107
	v_add_f16_e32 v44, v44, v47
	ds_write2_b32 v24, v21, v22 offset0:29 offset1:146
	v_pack_b32_f16 v21, v30, v32
	ds_write_b32 v107, v21 offset:5148
	v_pack_b32_f16 v21, v33, v44
	v_pack_b32_f16 v22, v52, v46
	v_add_u32_e32 v24, 0x1400, v108
	ds_write2_b32 v24, v21, v22 offset0:124 offset1:241
	v_pack_b32_f16 v21, v23, v34
	ds_write_b32 v108, v21 offset:6552
	s_waitcnt lgkmcnt(0)
	s_barrier
	ds_read2_b32 v[21:22], v67 offset1:117
	ds_read2_b32 v[23:24], v20 offset0:106 offset1:223
	ds_read2_b32 v[25:26], v17 offset0:62 offset1:179
	;; [unrolled: 1-line block ×5, first 2 shown]
	s_waitcnt lgkmcnt(4)
	v_lshrrev_b32_e32 v36, 16, v24
	v_mul_f16_sdwa v51, v0, v36 dst_sel:DWORD dst_unused:UNUSED_PAD src0_sel:WORD_1 src1_sel:DWORD
	s_waitcnt lgkmcnt(3)
	v_lshrrev_b32_e32 v37, 16, v25
	v_fma_f16 v51, v0, v24, v51
	v_mul_f16_sdwa v24, v0, v24 dst_sel:DWORD dst_unused:UNUSED_PAD src0_sel:WORD_1 src1_sel:DWORD
	v_fma_f16 v0, v0, v36, -v24
	v_mul_f16_sdwa v24, v1, v37 dst_sel:DWORD dst_unused:UNUSED_PAD src0_sel:WORD_1 src1_sel:DWORD
	s_waitcnt lgkmcnt(2)
	v_lshrrev_b32_e32 v38, 16, v28
	v_fma_f16 v24, v1, v25, v24
	v_mul_f16_sdwa v25, v1, v25 dst_sel:DWORD dst_unused:UNUSED_PAD src0_sel:WORD_1 src1_sel:DWORD
	v_fma_f16 v1, v1, v37, -v25
	v_mul_f16_sdwa v25, v2, v38 dst_sel:DWORD dst_unused:UNUSED_PAD src0_sel:WORD_1 src1_sel:DWORD
	s_waitcnt lgkmcnt(1)
	v_lshrrev_b32_e32 v39, 16, v29
	v_fma_f16 v25, v2, v28, v25
	v_mul_f16_sdwa v28, v2, v28 dst_sel:DWORD dst_unused:UNUSED_PAD src0_sel:WORD_1 src1_sel:DWORD
	ds_read2_b32 v[33:34], v15 offset0:18 offset1:135
	v_fma_f16 v2, v2, v38, -v28
	v_mul_f16_sdwa v28, v3, v39 dst_sel:DWORD dst_unused:UNUSED_PAD src0_sel:WORD_1 src1_sel:DWORD
	s_waitcnt lgkmcnt(1)
	v_lshrrev_b32_e32 v41, 16, v31
	v_fma_f16 v28, v3, v29, v28
	v_mul_f16_sdwa v29, v3, v29 dst_sel:DWORD dst_unused:UNUSED_PAD src0_sel:WORD_1 src1_sel:DWORD
	v_fma_f16 v3, v3, v39, -v29
	v_mul_f16_sdwa v29, v4, v41 dst_sel:DWORD dst_unused:UNUSED_PAD src0_sel:WORD_1 src1_sel:DWORD
	v_lshrrev_b32_e32 v42, 16, v26
	v_fma_f16 v29, v4, v31, v29
	v_mul_f16_sdwa v31, v4, v31 dst_sel:DWORD dst_unused:UNUSED_PAD src0_sel:WORD_1 src1_sel:DWORD
	v_fma_f16 v4, v4, v41, -v31
	v_mul_f16_sdwa v31, v5, v42 dst_sel:DWORD dst_unused:UNUSED_PAD src0_sel:WORD_1 src1_sel:DWORD
	s_waitcnt lgkmcnt(0)
	v_lshrrev_b32_e32 v43, 16, v33
	v_fma_f16 v31, v5, v26, v31
	v_mul_f16_sdwa v26, v5, v26 dst_sel:DWORD dst_unused:UNUSED_PAD src0_sel:WORD_1 src1_sel:DWORD
	v_fma_f16 v5, v5, v42, -v26
	v_mul_f16_sdwa v26, v6, v43 dst_sel:DWORD dst_unused:UNUSED_PAD src0_sel:WORD_1 src1_sel:DWORD
	v_lshrrev_b32_e32 v44, 16, v30
	v_fma_f16 v26, v6, v33, v26
	v_mul_f16_sdwa v33, v6, v33 dst_sel:DWORD dst_unused:UNUSED_PAD src0_sel:WORD_1 src1_sel:DWORD
	v_fma_f16 v6, v6, v43, -v33
	v_mul_f16_sdwa v33, v7, v44 dst_sel:DWORD dst_unused:UNUSED_PAD src0_sel:WORD_1 src1_sel:DWORD
	v_lshrrev_b32_e32 v47, 16, v32
	v_fma_f16 v33, v7, v30, v33
	v_mul_f16_sdwa v30, v7, v30 dst_sel:DWORD dst_unused:UNUSED_PAD src0_sel:WORD_1 src1_sel:DWORD
	ds_read_b32 v45, v67 offset:6552
	v_fma_f16 v7, v7, v44, -v30
	v_mul_f16_sdwa v30, v8, v47 dst_sel:DWORD dst_unused:UNUSED_PAD src0_sel:WORD_1 src1_sel:DWORD
	v_lshrrev_b32_e32 v48, 16, v27
	v_fma_f16 v30, v8, v32, v30
	v_mul_f16_sdwa v32, v8, v32 dst_sel:DWORD dst_unused:UNUSED_PAD src0_sel:WORD_1 src1_sel:DWORD
	v_fma_f16 v8, v8, v47, -v32
	v_mul_f16_sdwa v32, v9, v48 dst_sel:DWORD dst_unused:UNUSED_PAD src0_sel:WORD_1 src1_sel:DWORD
	v_lshrrev_b32_e32 v49, 16, v34
	v_fma_f16 v32, v9, v27, v32
	v_mul_f16_sdwa v27, v9, v27 dst_sel:DWORD dst_unused:UNUSED_PAD src0_sel:WORD_1 src1_sel:DWORD
	v_add_f16_e32 v37, v24, v25
	v_fma_f16 v9, v9, v48, -v27
	v_mul_f16_sdwa v27, v10, v49 dst_sel:DWORD dst_unused:UNUSED_PAD src0_sel:WORD_1 src1_sel:DWORD
	v_fma_f16 v37, v37, -0.5, v21
	v_sub_f16_e32 v38, v0, v3
	s_mov_b32 s2, 0xbb9c
	s_movk_i32 s5, 0x3b9c
	s_waitcnt lgkmcnt(0)
	v_lshrrev_b32_e32 v50, 16, v45
	v_fma_f16 v27, v10, v34, v27
	v_mul_f16_sdwa v34, v10, v34 dst_sel:DWORD dst_unused:UNUSED_PAD src0_sel:WORD_1 src1_sel:DWORD
	v_fma_f16 v39, v38, s2, v37
	v_sub_f16_e32 v41, v1, v2
	s_mov_b32 s3, 0xb8b4
	v_sub_f16_e32 v42, v51, v24
	v_sub_f16_e32 v43, v28, v25
	v_fma_f16 v37, v38, s5, v37
	s_movk_i32 s12, 0x38b4
	v_fma_f16 v10, v10, v49, -v34
	v_mul_f16_sdwa v34, v11, v50 dst_sel:DWORD dst_unused:UNUSED_PAD src0_sel:WORD_1 src1_sel:DWORD
	v_mul_f16_sdwa v36, v11, v45 dst_sel:DWORD dst_unused:UNUSED_PAD src0_sel:WORD_1 src1_sel:DWORD
	v_fma_f16 v39, v41, s3, v39
	v_add_f16_e32 v42, v42, v43
	s_movk_i32 s4, 0x34f2
	v_fma_f16 v37, v41, s12, v37
	v_fma_f16 v34, v11, v45, v34
	v_fma_f16 v11, v11, v50, -v36
	v_add_f16_e32 v36, v21, v51
	v_fma_f16 v39, v42, s4, v39
	v_fma_f16 v37, v42, s4, v37
	v_add_f16_e32 v42, v51, v28
	v_lshrrev_b32_e32 v35, 16, v21
	v_add_f16_e32 v36, v36, v24
	v_fma_f16 v21, v42, -0.5, v21
	v_add_f16_e32 v36, v36, v25
	v_fma_f16 v42, v41, s5, v21
	v_sub_f16_e32 v43, v24, v51
	v_sub_f16_e32 v44, v25, v28
	v_fma_f16 v21, v41, s2, v21
	v_add_f16_e32 v41, v1, v2
	v_add_f16_e32 v36, v36, v28
	v_fma_f16 v42, v38, s3, v42
	v_add_f16_e32 v43, v43, v44
	v_fma_f16 v21, v38, s12, v21
	v_fma_f16 v41, v41, -0.5, v35
	v_sub_f16_e32 v28, v51, v28
	v_fma_f16 v42, v43, s4, v42
	v_fma_f16 v21, v43, s4, v21
	;; [unrolled: 1-line block ×3, first 2 shown]
	v_sub_f16_e32 v24, v24, v25
	v_fma_f16 v25, v24, s12, v43
	v_sub_f16_e32 v43, v0, v1
	v_sub_f16_e32 v44, v3, v2
	v_fma_f16 v41, v28, s2, v41
	v_add_f16_e32 v38, v35, v0
	v_add_f16_e32 v43, v43, v44
	v_fma_f16 v41, v24, s3, v41
	v_add_f16_e32 v38, v38, v1
	v_fma_f16 v25, v43, s4, v25
	v_fma_f16 v41, v43, s4, v41
	v_add_f16_e32 v43, v0, v3
	v_add_f16_e32 v38, v38, v2
	v_fma_f16 v35, v43, -0.5, v35
	v_add_f16_e32 v38, v38, v3
	v_fma_f16 v43, v24, s2, v35
	v_sub_f16_e32 v0, v1, v0
	v_sub_f16_e32 v1, v2, v3
	v_add_f16_e32 v3, v31, v26
	v_fma_f16 v43, v28, s12, v43
	v_add_f16_e32 v0, v0, v1
	v_fma_f16 v2, v24, s5, v35
	v_fma_f16 v3, v3, -0.5, v22
	v_sub_f16_e32 v24, v4, v7
	v_fma_f16 v1, v0, s4, v43
	v_fma_f16 v2, v28, s3, v2
	;; [unrolled: 1-line block ×3, first 2 shown]
	v_sub_f16_e32 v35, v5, v6
	v_sub_f16_e32 v43, v29, v31
	;; [unrolled: 1-line block ×3, first 2 shown]
	v_fma_f16 v3, v24, s5, v3
	v_fma_f16 v28, v35, s3, v28
	v_add_f16_e32 v43, v43, v44
	v_fma_f16 v3, v35, s12, v3
	v_fma_f16 v28, v43, s4, v28
	;; [unrolled: 1-line block ×3, first 2 shown]
	v_add_f16_e32 v43, v29, v33
	v_lshrrev_b32_e32 v40, 16, v22
	v_fma_f16 v0, v0, s4, v2
	v_add_f16_e32 v2, v22, v29
	v_fma_f16 v22, v43, -0.5, v22
	v_add_f16_e32 v2, v2, v31
	v_fma_f16 v43, v35, s5, v22
	v_fma_f16 v22, v35, s2, v22
	v_add_f16_e32 v35, v5, v6
	v_add_f16_e32 v2, v2, v26
	v_sub_f16_e32 v44, v31, v29
	v_sub_f16_e32 v45, v26, v33
	v_fma_f16 v35, v35, -0.5, v40
	v_sub_f16_e32 v29, v29, v33
	v_add_f16_e32 v2, v2, v33
	v_fma_f16 v43, v24, s3, v43
	v_add_f16_e32 v44, v44, v45
	v_fma_f16 v22, v24, s12, v22
	v_fma_f16 v33, v29, s5, v35
	v_sub_f16_e32 v26, v31, v26
	v_fma_f16 v43, v44, s4, v43
	v_fma_f16 v22, v44, s4, v22
	;; [unrolled: 1-line block ×3, first 2 shown]
	v_sub_f16_e32 v33, v4, v5
	v_sub_f16_e32 v44, v7, v6
	v_fma_f16 v35, v29, s2, v35
	v_add_f16_e32 v24, v40, v4
	v_add_f16_e32 v33, v33, v44
	v_fma_f16 v35, v26, s3, v35
	v_add_f16_e32 v24, v24, v5
	v_fma_f16 v31, v33, s4, v31
	v_fma_f16 v33, v33, s4, v35
	v_add_f16_e32 v35, v4, v7
	v_add_f16_e32 v24, v24, v6
	v_fma_f16 v35, v35, -0.5, v40
	v_add_f16_e32 v24, v24, v7
	v_fma_f16 v40, v26, s2, v35
	v_sub_f16_e32 v4, v5, v4
	v_sub_f16_e32 v5, v6, v7
	v_add_f16_e32 v7, v32, v27
	v_fma_f16 v40, v29, s12, v40
	v_add_f16_e32 v4, v4, v5
	v_fma_f16 v6, v26, s5, v35
	v_fma_f16 v7, v7, -0.5, v23
	v_sub_f16_e32 v26, v8, v11
	v_fma_f16 v5, v4, s4, v40
	v_fma_f16 v6, v29, s3, v6
	;; [unrolled: 1-line block ×3, first 2 shown]
	v_sub_f16_e32 v35, v9, v10
	v_sub_f16_e32 v40, v30, v32
	;; [unrolled: 1-line block ×3, first 2 shown]
	v_fma_f16 v7, v26, s5, v7
	v_fma_f16 v29, v35, s3, v29
	v_add_f16_e32 v40, v40, v44
	v_fma_f16 v7, v35, s12, v7
	v_fma_f16 v29, v40, s4, v29
	;; [unrolled: 1-line block ×3, first 2 shown]
	v_add_f16_e32 v40, v30, v34
	v_lshrrev_b32_e32 v46, 16, v23
	v_fma_f16 v4, v4, s4, v6
	v_add_f16_e32 v6, v23, v30
	v_fma_f16 v23, v40, -0.5, v23
	v_add_f16_e32 v6, v6, v32
	v_fma_f16 v40, v35, s5, v23
	v_fma_f16 v23, v35, s2, v23
	v_add_f16_e32 v35, v9, v10
	v_add_f16_e32 v6, v6, v27
	v_sub_f16_e32 v44, v32, v30
	v_sub_f16_e32 v45, v27, v34
	v_fma_f16 v35, v35, -0.5, v46
	v_sub_f16_e32 v30, v30, v34
	v_add_f16_e32 v6, v6, v34
	v_fma_f16 v40, v26, s3, v40
	v_add_f16_e32 v44, v44, v45
	v_fma_f16 v23, v26, s12, v23
	v_fma_f16 v34, v30, s5, v35
	v_sub_f16_e32 v27, v32, v27
	v_fma_f16 v40, v44, s4, v40
	v_fma_f16 v23, v44, s4, v23
	;; [unrolled: 1-line block ×3, first 2 shown]
	v_sub_f16_e32 v34, v8, v9
	v_sub_f16_e32 v44, v11, v10
	v_fma_f16 v35, v30, s2, v35
	v_add_f16_e32 v34, v34, v44
	v_fma_f16 v35, v27, s3, v35
	v_add_f16_e32 v26, v46, v8
	v_fma_f16 v32, v34, s4, v32
	v_fma_f16 v34, v34, s4, v35
	v_add_f16_e32 v35, v8, v11
	v_add_f16_e32 v26, v26, v9
	v_fma_f16 v35, v35, -0.5, v46
	v_add_f16_e32 v26, v26, v10
	v_fma_f16 v44, v27, s2, v35
	v_sub_f16_e32 v8, v9, v8
	v_sub_f16_e32 v9, v10, v11
	v_fma_f16 v10, v27, s5, v35
	v_add_f16_e32 v26, v26, v11
	v_fma_f16 v44, v30, s12, v44
	v_add_f16_e32 v8, v8, v9
	v_fma_f16 v10, v30, s3, v10
	v_pack_b32_f16 v0, v21, v0
	v_pack_b32_f16 v21, v37, v41
	;; [unrolled: 1-line block ×3, first 2 shown]
	v_fma_f16 v9, v8, s4, v44
	v_fma_f16 v8, v8, s4, v10
	v_pack_b32_f16 v10, v36, v38
	v_pack_b32_f16 v11, v39, v25
	;; [unrolled: 1-line block ×3, first 2 shown]
	ds_write2_b32 v19, v21, v3 offset0:124 offset1:241
	v_pack_b32_f16 v3, v6, v26
	ds_write2_b32 v67, v10, v2 offset1:117
	v_pack_b32_f16 v2, v28, v31
	ds_write2_b32 v20, v3, v11 offset0:106 offset1:223
	v_pack_b32_f16 v3, v29, v32
	v_pack_b32_f16 v1, v42, v1
	v_pack_b32_f16 v5, v43, v5
	ds_write2_b32 v18, v2, v3 offset0:84 offset1:201
	v_pack_b32_f16 v2, v40, v9
	ds_write2_b32 v17, v1, v5 offset0:62 offset1:179
	v_pack_b32_f16 v1, v22, v4
	;; [unrolled: 2-line block ×4, first 2 shown]
	ds_write_b32 v67, v0 offset:6552
	s_waitcnt lgkmcnt(0)
	s_barrier
	ds_read2_b32 v[0:1], v67 offset1:135
	s_mov_b32 s12, 0x68012abd
	s_mov_b32 s13, 0x3f42abd5
	v_mad_u64_u32 v[3:4], s[2:3], s10, v14, 0
	s_waitcnt lgkmcnt(0)
	v_lshrrev_b32_e32 v9, 16, v0
	v_mul_f16_sdwa v2, v81, v9 dst_sel:DWORD dst_unused:UNUSED_PAD src0_sel:WORD_1 src1_sel:DWORD
	v_fma_f16 v2, v81, v0, v2
	v_cvt_f32_f16_e32 v2, v2
	s_movk_i32 s15, 0x1ff
	s_movk_i32 s10, 0xffe
	v_mul_f16_sdwa v0, v81, v0 dst_sel:DWORD dst_unused:UNUSED_PAD src0_sel:WORD_1 src1_sel:DWORD
	v_cvt_f64_f32_e32 v[5:6], v2
	v_mov_b32_e32 v2, v4
	v_mad_u64_u32 v[7:8], s[2:3], s11, v14, v[2:3]
	v_mul_f64 v[5:6], v[5:6], s[12:13]
	v_fma_f16 v0, v81, v9, -v0
	v_mov_b32_e32 v4, v7
	v_cvt_f32_f16_e32 v0, v0
	s_movk_i32 s11, 0x40f
	s_mov_b32 s14, 0x8000
	v_lshlrev_b64 v[3:4], 2, v[3:4]
	s_movk_i32 s16, 0x1000
	v_and_or_b32 v2, v6, s15, v5
	v_cmp_ne_u32_e32 vcc, 0, v2
	v_cndmask_b32_e64 v2, 0, 1, vcc
	v_lshrrev_b32_e32 v5, 8, v6
	v_bfe_u32 v7, v6, 20, 11
	v_and_or_b32 v5, v5, s10, v2
	v_sub_u32_e32 v8, 0x3f1, v7
	v_or_b32_e32 v2, 0x1000, v5
	v_med3_i32 v8, v8, 0, 13
	v_lshrrev_b32_e32 v10, v8, v2
	v_lshlrev_b32_e32 v8, v8, v10
	v_cmp_ne_u32_e32 vcc, v8, v2
	v_cndmask_b32_e64 v2, 0, 1, vcc
	v_or_b32_e32 v2, v10, v2
	v_add_u32_e32 v10, 0xfffffc10, v7
	v_lshl_or_b32 v7, v10, 12, v5
	v_cmp_gt_i32_e32 vcc, 1, v10
	v_cndmask_b32_e32 v2, v7, v2, vcc
	v_and_b32_e32 v7, 7, v2
	v_cmp_lt_i32_e32 vcc, 5, v7
	v_cmp_eq_u32_e64 s[2:3], 3, v7
	v_cvt_f64_f32_e32 v[7:8], v0
	v_lshrrev_b32_e32 v2, 2, v2
	s_or_b64 vcc, s[2:3], vcc
	v_addc_co_u32_e32 v9, vcc, 0, v2, vcc
	v_mul_f64 v[7:8], v[7:8], s[12:13]
	v_mov_b32_e32 v2, 0x7c00
	v_cmp_gt_i32_e32 vcc, 31, v10
	v_cndmask_b32_e32 v0, v2, v9, vcc
	v_cmp_ne_u32_e32 vcc, 0, v5
	v_cndmask_b32_e64 v5, 0, 1, vcc
	v_lshl_or_b32 v5, v5, 9, v2
	v_cmp_eq_u32_e32 vcc, s11, v10
	v_cndmask_b32_e32 v0, v0, v5, vcc
	v_lshrrev_b32_e32 v5, 16, v6
	v_and_or_b32 v9, v5, s14, v0
	v_and_or_b32 v0, v8, s15, v7
	v_cmp_ne_u32_e32 vcc, 0, v0
	v_cndmask_b32_e64 v0, 0, 1, vcc
	v_lshrrev_b32_e32 v5, 8, v8
	v_bfe_u32 v6, v8, 20, 11
	v_and_or_b32 v0, v5, s10, v0
	v_sub_u32_e32 v7, 0x3f1, v6
	v_or_b32_e32 v5, 0x1000, v0
	v_med3_i32 v7, v7, 0, 13
	v_lshrrev_b32_e32 v10, v7, v5
	v_lshlrev_b32_e32 v7, v7, v10
	v_cmp_ne_u32_e32 vcc, v7, v5
	v_cndmask_b32_e64 v5, 0, 1, vcc
	v_add_u32_e32 v7, 0xfffffc10, v6
	v_or_b32_e32 v5, v10, v5
	v_lshl_or_b32 v6, v7, 12, v0
	v_cmp_gt_i32_e32 vcc, 1, v7
	v_cndmask_b32_e32 v5, v6, v5, vcc
	v_and_b32_e32 v6, 7, v5
	v_cmp_lt_i32_e32 vcc, 5, v6
	v_cmp_eq_u32_e64 s[2:3], 3, v6
	v_lshrrev_b32_e32 v5, 2, v5
	s_or_b64 vcc, s[2:3], vcc
	v_addc_co_u32_e32 v5, vcc, 0, v5, vcc
	v_cmp_gt_i32_e32 vcc, 31, v7
	v_cndmask_b32_e32 v10, v2, v5, vcc
	v_mad_u64_u32 v[5:6], s[2:3], s8, v79, 0
	v_cmp_ne_u32_e32 vcc, 0, v0
	v_cndmask_b32_e64 v0, 0, 1, vcc
	v_lshl_or_b32 v0, v0, 9, v2
	v_cmp_eq_u32_e32 vcc, s11, v7
	v_cndmask_b32_e32 v10, v10, v0, vcc
	v_mov_b32_e32 v0, v6
	v_mad_u64_u32 v[6:7], s[2:3], s9, v79, v[0:1]
	v_lshrrev_b32_e32 v0, 16, v1
	v_mul_f16_sdwa v7, v80, v0 dst_sel:DWORD dst_unused:UNUSED_PAD src0_sel:WORD_1 src1_sel:DWORD
	v_fma_f16 v7, v80, v1, v7
	v_cvt_f32_f16_e32 v7, v7
	v_lshrrev_b32_e32 v8, 16, v8
	v_and_or_b32 v10, v8, s14, v10
	v_and_b32_e32 v9, 0xffff, v9
	v_cvt_f64_f32_e32 v[7:8], v7
	v_lshl_or_b32 v9, v10, 16, v9
	v_mov_b32_e32 v10, s7
	v_add_co_u32_e32 v11, vcc, s6, v3
	v_mul_f64 v[7:8], v[7:8], s[12:13]
	v_addc_co_u32_e32 v10, vcc, v10, v4, vcc
	v_lshlrev_b64 v[3:4], 2, v[5:6]
	v_mul_f16_sdwa v1, v80, v1 dst_sel:DWORD dst_unused:UNUSED_PAD src0_sel:WORD_1 src1_sel:DWORD
	v_add_co_u32_e32 v3, vcc, v11, v3
	v_addc_co_u32_e32 v4, vcc, v10, v4, vcc
	v_and_or_b32 v5, v8, s15, v7
	v_cmp_ne_u32_e32 vcc, 0, v5
	v_fma_f16 v0, v80, v0, -v1
	v_cndmask_b32_e64 v5, 0, 1, vcc
	v_lshrrev_b32_e32 v6, 8, v8
	v_bfe_u32 v7, v8, 20, 11
	v_cvt_f32_f16_e32 v0, v0
	global_store_dword v[3:4], v9, off
	v_and_or_b32 v5, v6, s10, v5
	v_sub_u32_e32 v9, 0x3f1, v7
	v_or_b32_e32 v6, 0x1000, v5
	v_med3_i32 v9, v9, 0, 13
	v_lshrrev_b32_e32 v10, v9, v6
	v_lshlrev_b32_e32 v9, v9, v10
	v_cvt_f64_f32_e32 v[0:1], v0
	v_cmp_ne_u32_e32 vcc, v9, v6
	v_cndmask_b32_e64 v6, 0, 1, vcc
	v_add_u32_e32 v7, 0xfffffc10, v7
	v_or_b32_e32 v6, v10, v6
	v_lshl_or_b32 v9, v7, 12, v5
	v_cmp_gt_i32_e32 vcc, 1, v7
	v_cndmask_b32_e32 v6, v9, v6, vcc
	v_mul_f64 v[0:1], v[0:1], s[12:13]
	v_and_b32_e32 v9, 7, v6
	v_cmp_lt_i32_e32 vcc, 5, v9
	v_cmp_eq_u32_e64 s[2:3], 3, v9
	v_lshrrev_b32_e32 v6, 2, v6
	s_or_b64 vcc, s[2:3], vcc
	v_addc_co_u32_e32 v6, vcc, 0, v6, vcc
	v_cmp_gt_i32_e32 vcc, 31, v7
	v_cndmask_b32_e32 v6, v2, v6, vcc
	v_cmp_ne_u32_e32 vcc, 0, v5
	v_cndmask_b32_e64 v5, 0, 1, vcc
	v_lshl_or_b32 v5, v5, 9, v2
	v_cmp_eq_u32_e32 vcc, s11, v7
	v_and_or_b32 v0, v1, s15, v0
	v_cndmask_b32_e32 v5, v6, v5, vcc
	v_lshrrev_b32_e32 v6, 16, v8
	v_cmp_ne_u32_e32 vcc, 0, v0
	v_and_or_b32 v7, v6, s14, v5
	v_cndmask_b32_e64 v0, 0, 1, vcc
	v_lshrrev_b32_e32 v5, 8, v1
	v_bfe_u32 v6, v1, 20, 11
	v_and_or_b32 v0, v5, s10, v0
	v_sub_u32_e32 v8, 0x3f1, v6
	v_or_b32_e32 v5, 0x1000, v0
	v_med3_i32 v8, v8, 0, 13
	v_lshrrev_b32_e32 v9, v8, v5
	v_lshlrev_b32_e32 v8, v8, v9
	v_cmp_ne_u32_e32 vcc, v8, v5
	v_cndmask_b32_e64 v5, 0, 1, vcc
	v_add_u32_e32 v8, 0xfffffc10, v6
	v_or_b32_e32 v5, v9, v5
	v_lshl_or_b32 v6, v8, 12, v0
	v_cmp_gt_i32_e32 vcc, 1, v8
	v_cndmask_b32_e32 v5, v6, v5, vcc
	v_and_b32_e32 v6, 7, v5
	v_cmp_lt_i32_e32 vcc, 5, v6
	v_cmp_eq_u32_e64 s[2:3], 3, v6
	v_lshrrev_b32_e32 v5, 2, v5
	s_or_b64 vcc, s[2:3], vcc
	v_addc_co_u32_e32 v5, vcc, 0, v5, vcc
	v_cmp_gt_i32_e32 vcc, 31, v8
	v_cndmask_b32_e32 v9, v2, v5, vcc
	v_add_u32_e32 v5, 0x400, v67
	ds_read2_b32 v[5:6], v5 offset0:14 offset1:149
	v_cmp_ne_u32_e32 vcc, 0, v0
	v_cndmask_b32_e64 v0, 0, 1, vcc
	v_lshl_or_b32 v0, v0, 9, v2
	v_cmp_eq_u32_e32 vcc, s11, v8
	v_cndmask_b32_e32 v0, v9, v0, vcc
	v_lshrrev_b32_e32 v1, 16, v1
	s_waitcnt lgkmcnt(0)
	v_lshrrev_b32_e32 v9, 16, v5
	v_and_or_b32 v8, v1, s14, v0
	v_mul_f16_sdwa v0, v78, v9 dst_sel:DWORD dst_unused:UNUSED_PAD src0_sel:WORD_1 src1_sel:DWORD
	v_fma_f16 v0, v78, v5, v0
	v_cvt_f32_f16_e32 v0, v0
	v_and_b32_e32 v7, 0xffff, v7
	v_lshl_or_b32 v10, v8, 16, v7
	s_mul_i32 s2, s9, 0x87
	v_cvt_f64_f32_e32 v[0:1], v0
	s_mul_hi_u32 s3, s8, 0x87
	s_add_i32 s3, s3, s2
	s_mul_i32 s2, s8, 0x87
	v_mul_f64 v[7:8], v[0:1], s[12:13]
	s_lshl_b64 s[6:7], s[2:3], 2
	v_mov_b32_e32 v1, s7
	v_add_co_u32_e32 v3, vcc, s6, v3
	v_addc_co_u32_e32 v4, vcc, v4, v1, vcc
	global_store_dword v[3:4], v10, off
	v_and_or_b32 v0, v8, s15, v7
	v_cmp_ne_u32_e32 vcc, 0, v0
	v_cndmask_b32_e64 v0, 0, 1, vcc
	v_lshrrev_b32_e32 v7, 8, v8
	v_bfe_u32 v10, v8, 20, 11
	v_and_or_b32 v0, v7, s10, v0
	v_sub_u32_e32 v11, 0x3f1, v10
	v_or_b32_e32 v7, 0x1000, v0
	v_med3_i32 v11, v11, 0, 13
	v_lshrrev_b32_e32 v14, v11, v7
	v_lshlrev_b32_e32 v11, v11, v14
	v_mul_f16_sdwa v5, v78, v5 dst_sel:DWORD dst_unused:UNUSED_PAD src0_sel:WORD_1 src1_sel:DWORD
	v_cmp_ne_u32_e32 vcc, v11, v7
	v_fma_f16 v5, v78, v9, -v5
	v_cndmask_b32_e64 v7, 0, 1, vcc
	v_add_u32_e32 v11, 0xfffffc10, v10
	v_cvt_f32_f16_e32 v5, v5
	v_or_b32_e32 v7, v14, v7
	v_lshl_or_b32 v10, v11, 12, v0
	v_cmp_gt_i32_e32 vcc, 1, v11
	v_cndmask_b32_e32 v7, v10, v7, vcc
	v_and_b32_e32 v10, 7, v7
	v_cmp_lt_i32_e32 vcc, 5, v10
	v_cmp_eq_u32_e64 s[2:3], 3, v10
	v_cvt_f64_f32_e32 v[9:10], v5
	v_lshrrev_b32_e32 v7, 2, v7
	s_or_b64 vcc, s[2:3], vcc
	v_addc_co_u32_e32 v5, vcc, 0, v7, vcc
	v_mul_f64 v[9:10], v[9:10], s[12:13]
	v_cmp_gt_i32_e32 vcc, 31, v11
	v_cndmask_b32_e32 v5, v2, v5, vcc
	v_cmp_ne_u32_e32 vcc, 0, v0
	v_cndmask_b32_e64 v0, 0, 1, vcc
	v_lshl_or_b32 v0, v0, 9, v2
	v_cmp_eq_u32_e32 vcc, s11, v11
	v_cndmask_b32_e32 v0, v5, v0, vcc
	v_lshrrev_b32_e32 v5, 16, v8
	v_and_or_b32 v0, v5, s14, v0
	v_and_or_b32 v5, v10, s15, v9
	v_cmp_ne_u32_e32 vcc, 0, v5
	v_cndmask_b32_e64 v5, 0, 1, vcc
	v_lshrrev_b32_e32 v7, 8, v10
	v_bfe_u32 v8, v10, 20, 11
	v_and_or_b32 v5, v7, s10, v5
	v_sub_u32_e32 v9, 0x3f1, v8
	v_or_b32_e32 v7, 0x1000, v5
	v_med3_i32 v9, v9, 0, 13
	v_lshrrev_b32_e32 v11, v9, v7
	v_lshlrev_b32_e32 v9, v9, v11
	v_cmp_ne_u32_e32 vcc, v9, v7
	v_cndmask_b32_e64 v7, 0, 1, vcc
	v_add_u32_e32 v9, 0xfffffc10, v8
	v_or_b32_e32 v7, v11, v7
	v_lshl_or_b32 v8, v9, 12, v5
	v_cmp_gt_i32_e32 vcc, 1, v9
	v_cndmask_b32_e32 v7, v8, v7, vcc
	v_and_b32_e32 v8, 7, v7
	v_cmp_lt_i32_e32 vcc, 5, v8
	v_cmp_eq_u32_e64 s[2:3], 3, v8
	v_lshrrev_b32_e32 v7, 2, v7
	s_or_b64 vcc, s[2:3], vcc
	v_addc_co_u32_e32 v7, vcc, 0, v7, vcc
	v_cmp_gt_i32_e32 vcc, 31, v9
	v_lshrrev_b32_e32 v14, 16, v6
	v_cndmask_b32_e32 v11, v2, v7, vcc
	v_mul_f16_sdwa v7, v77, v14 dst_sel:DWORD dst_unused:UNUSED_PAD src0_sel:WORD_1 src1_sel:DWORD
	v_fma_f16 v7, v77, v6, v7
	v_cvt_f32_f16_e32 v7, v7
	v_cmp_ne_u32_e32 vcc, 0, v5
	v_cndmask_b32_e64 v5, 0, 1, vcc
	v_lshl_or_b32 v5, v5, 9, v2
	v_cvt_f64_f32_e32 v[7:8], v7
	v_cmp_eq_u32_e32 vcc, s11, v9
	v_cndmask_b32_e32 v5, v11, v5, vcc
	v_lshrrev_b32_e32 v9, 16, v10
	v_mul_f64 v[7:8], v[7:8], s[12:13]
	v_and_or_b32 v5, v9, s14, v5
	v_and_b32_e32 v0, 0xffff, v0
	v_add_co_u32_e32 v3, vcc, s6, v3
	v_lshl_or_b32 v0, v5, 16, v0
	v_addc_co_u32_e32 v4, vcc, v4, v1, vcc
	global_store_dword v[3:4], v0, off
	v_and_or_b32 v0, v8, s15, v7
	v_cmp_ne_u32_e32 vcc, 0, v0
	v_cndmask_b32_e64 v0, 0, 1, vcc
	v_lshrrev_b32_e32 v5, 8, v8
	v_bfe_u32 v7, v8, 20, 11
	v_and_or_b32 v0, v5, s10, v0
	v_sub_u32_e32 v9, 0x3f1, v7
	v_or_b32_e32 v5, 0x1000, v0
	v_med3_i32 v9, v9, 0, 13
	v_lshrrev_b32_e32 v10, v9, v5
	v_lshlrev_b32_e32 v9, v9, v10
	v_mul_f16_sdwa v6, v77, v6 dst_sel:DWORD dst_unused:UNUSED_PAD src0_sel:WORD_1 src1_sel:DWORD
	v_cmp_ne_u32_e32 vcc, v9, v5
	v_fma_f16 v6, v77, v14, -v6
	v_cndmask_b32_e64 v5, 0, 1, vcc
	v_add_u32_e32 v7, 0xfffffc10, v7
	v_cvt_f32_f16_e32 v6, v6
	v_or_b32_e32 v5, v10, v5
	v_lshl_or_b32 v9, v7, 12, v0
	v_cmp_gt_i32_e32 vcc, 1, v7
	v_cndmask_b32_e32 v5, v9, v5, vcc
	v_and_b32_e32 v9, 7, v5
	v_cmp_lt_i32_e32 vcc, 5, v9
	v_cmp_eq_u32_e64 s[2:3], 3, v9
	v_lshrrev_b32_e32 v9, 2, v5
	v_cvt_f64_f32_e32 v[5:6], v6
	s_or_b64 vcc, s[2:3], vcc
	v_addc_co_u32_e32 v9, vcc, 0, v9, vcc
	v_mul_f64 v[5:6], v[5:6], s[12:13]
	v_cmp_gt_i32_e32 vcc, 31, v7
	v_cndmask_b32_e32 v9, v2, v9, vcc
	v_cmp_ne_u32_e32 vcc, 0, v0
	v_cndmask_b32_e64 v0, 0, 1, vcc
	v_lshl_or_b32 v0, v0, 9, v2
	v_cmp_eq_u32_e32 vcc, s11, v7
	v_cndmask_b32_e32 v0, v9, v0, vcc
	v_and_or_b32 v5, v6, s15, v5
	v_lshrrev_b32_e32 v7, 16, v8
	v_cmp_ne_u32_e32 vcc, 0, v5
	v_and_or_b32 v0, v7, s14, v0
	v_cndmask_b32_e64 v5, 0, 1, vcc
	v_lshrrev_b32_e32 v7, 8, v6
	v_bfe_u32 v8, v6, 20, 11
	v_and_or_b32 v5, v7, s10, v5
	v_sub_u32_e32 v9, 0x3f1, v8
	v_or_b32_e32 v7, 0x1000, v5
	v_med3_i32 v9, v9, 0, 13
	v_lshrrev_b32_e32 v10, v9, v7
	v_lshlrev_b32_e32 v9, v9, v10
	v_cmp_ne_u32_e32 vcc, v9, v7
	v_cndmask_b32_e64 v7, 0, 1, vcc
	v_add_u32_e32 v11, 0xfffffc10, v8
	v_or_b32_e32 v7, v10, v7
	v_lshl_or_b32 v8, v11, 12, v5
	v_cmp_gt_i32_e32 vcc, 1, v11
	v_cndmask_b32_e32 v7, v8, v7, vcc
	v_and_b32_e32 v8, 7, v7
	v_lshrrev_b32_e32 v9, 2, v7
	v_add_u32_e32 v7, 0x800, v67
	v_cmp_lt_i32_e32 vcc, 5, v8
	v_cmp_eq_u32_e64 s[2:3], 3, v8
	ds_read2_b32 v[7:8], v7 offset0:28 offset1:163
	s_or_b64 vcc, s[2:3], vcc
	v_addc_co_u32_e32 v9, vcc, 0, v9, vcc
	v_cmp_gt_i32_e32 vcc, 31, v11
	s_waitcnt lgkmcnt(0)
	v_lshrrev_b32_e32 v20, 16, v7
	v_cndmask_b32_e32 v14, v2, v9, vcc
	v_mul_f16_sdwa v9, v76, v20 dst_sel:DWORD dst_unused:UNUSED_PAD src0_sel:WORD_1 src1_sel:DWORD
	v_fma_f16 v9, v76, v7, v9
	v_cvt_f32_f16_e32 v9, v9
	v_cmp_ne_u32_e32 vcc, 0, v5
	v_cndmask_b32_e64 v5, 0, 1, vcc
	v_lshl_or_b32 v5, v5, 9, v2
	v_cvt_f64_f32_e32 v[9:10], v9
	v_cmp_eq_u32_e32 vcc, s11, v11
	v_cndmask_b32_e32 v5, v14, v5, vcc
	v_lshrrev_b32_e32 v6, 16, v6
	v_and_or_b32 v11, v6, s14, v5
	v_mul_f64 v[5:6], v[9:10], s[12:13]
	v_and_b32_e32 v0, 0xffff, v0
	v_add_co_u32_e32 v3, vcc, s6, v3
	v_lshl_or_b32 v0, v11, 16, v0
	v_addc_co_u32_e32 v4, vcc, v4, v1, vcc
	global_store_dword v[3:4], v0, off
	v_and_or_b32 v0, v6, s15, v5
	v_cmp_ne_u32_e32 vcc, 0, v0
	v_cndmask_b32_e64 v0, 0, 1, vcc
	v_lshrrev_b32_e32 v5, 8, v6
	v_bfe_u32 v9, v6, 20, 11
	v_and_or_b32 v0, v5, s10, v0
	v_sub_u32_e32 v10, 0x3f1, v9
	v_or_b32_e32 v5, 0x1000, v0
	v_med3_i32 v10, v10, 0, 13
	v_lshrrev_b32_e32 v11, v10, v5
	v_lshlrev_b32_e32 v10, v10, v11
	v_cmp_ne_u32_e32 vcc, v10, v5
	v_mul_f16_sdwa v7, v76, v7 dst_sel:DWORD dst_unused:UNUSED_PAD src0_sel:WORD_1 src1_sel:DWORD
	v_cndmask_b32_e64 v5, 0, 1, vcc
	v_fma_f16 v7, v76, v20, -v7
	v_or_b32_e32 v5, v11, v5
	v_add_u32_e32 v11, 0xfffffc10, v9
	v_cvt_f32_f16_e32 v7, v7
	v_lshl_or_b32 v9, v11, 12, v0
	v_cmp_gt_i32_e32 vcc, 1, v11
	v_cndmask_b32_e32 v5, v9, v5, vcc
	v_and_b32_e32 v9, 7, v5
	v_cmp_lt_i32_e32 vcc, 5, v9
	v_cmp_eq_u32_e64 s[2:3], 3, v9
	v_cvt_f64_f32_e32 v[9:10], v7
	v_lshrrev_b32_e32 v5, 2, v5
	s_or_b64 vcc, s[2:3], vcc
	v_addc_co_u32_e32 v5, vcc, 0, v5, vcc
	v_mul_f64 v[9:10], v[9:10], s[12:13]
	v_cmp_gt_i32_e32 vcc, 31, v11
	v_cndmask_b32_e32 v5, v2, v5, vcc
	v_cmp_ne_u32_e32 vcc, 0, v0
	v_cndmask_b32_e64 v0, 0, 1, vcc
	v_lshl_or_b32 v0, v0, 9, v2
	v_cmp_eq_u32_e32 vcc, s11, v11
	v_cndmask_b32_e32 v0, v5, v0, vcc
	v_lshrrev_b32_e32 v5, 16, v6
	v_and_or_b32 v0, v5, s14, v0
	v_and_or_b32 v5, v10, s15, v9
	v_cmp_ne_u32_e32 vcc, 0, v5
	v_cndmask_b32_e64 v5, 0, 1, vcc
	v_lshrrev_b32_e32 v6, 8, v10
	v_bfe_u32 v7, v10, 20, 11
	v_and_or_b32 v5, v6, s10, v5
	v_sub_u32_e32 v9, 0x3f1, v7
	v_or_b32_e32 v6, 0x1000, v5
	v_med3_i32 v9, v9, 0, 13
	v_lshrrev_b32_e32 v11, v9, v6
	v_lshlrev_b32_e32 v9, v9, v11
	v_cmp_ne_u32_e32 vcc, v9, v6
	v_cndmask_b32_e64 v6, 0, 1, vcc
	v_add_u32_e32 v7, 0xfffffc10, v7
	v_or_b32_e32 v6, v11, v6
	v_lshl_or_b32 v9, v7, 12, v5
	v_cmp_gt_i32_e32 vcc, 1, v7
	v_cndmask_b32_e32 v6, v9, v6, vcc
	v_and_b32_e32 v9, 7, v6
	v_cmp_lt_i32_e32 vcc, 5, v9
	v_cmp_eq_u32_e64 s[2:3], 3, v9
	v_lshrrev_b32_e32 v6, 2, v6
	s_or_b64 vcc, s[2:3], vcc
	v_addc_co_u32_e32 v6, vcc, 0, v6, vcc
	v_cmp_gt_i32_e32 vcc, 31, v7
	v_lshrrev_b32_e32 v11, 16, v8
	v_cndmask_b32_e32 v9, v2, v6, vcc
	v_mul_f16_sdwa v6, v75, v11 dst_sel:DWORD dst_unused:UNUSED_PAD src0_sel:WORD_1 src1_sel:DWORD
	v_fma_f16 v6, v75, v8, v6
	v_cvt_f32_f16_e32 v6, v6
	v_cmp_ne_u32_e32 vcc, 0, v5
	v_cndmask_b32_e64 v5, 0, 1, vcc
	v_lshl_or_b32 v14, v5, 9, v2
	v_cvt_f64_f32_e32 v[5:6], v6
	v_cmp_eq_u32_e32 vcc, s11, v7
	v_cndmask_b32_e32 v7, v9, v14, vcc
	v_lshrrev_b32_e32 v9, 16, v10
	v_mul_f64 v[5:6], v[5:6], s[12:13]
	v_and_or_b32 v7, v9, s14, v7
	v_and_b32_e32 v0, 0xffff, v0
	v_add_co_u32_e32 v3, vcc, s6, v3
	v_lshl_or_b32 v0, v7, 16, v0
	v_addc_co_u32_e32 v4, vcc, v4, v1, vcc
	global_store_dword v[3:4], v0, off
	v_and_or_b32 v0, v6, s15, v5
	v_cmp_ne_u32_e32 vcc, 0, v0
	v_cndmask_b32_e64 v0, 0, 1, vcc
	v_lshrrev_b32_e32 v5, 8, v6
	v_bfe_u32 v7, v6, 20, 11
	v_and_or_b32 v0, v5, s10, v0
	v_sub_u32_e32 v9, 0x3f1, v7
	v_or_b32_e32 v5, 0x1000, v0
	v_med3_i32 v9, v9, 0, 13
	v_lshrrev_b32_e32 v10, v9, v5
	v_lshlrev_b32_e32 v9, v9, v10
	v_mul_f16_sdwa v8, v75, v8 dst_sel:DWORD dst_unused:UNUSED_PAD src0_sel:WORD_1 src1_sel:DWORD
	v_cmp_ne_u32_e32 vcc, v9, v5
	v_fma_f16 v8, v75, v11, -v8
	v_cndmask_b32_e64 v5, 0, 1, vcc
	v_add_u32_e32 v9, 0xfffffc10, v7
	v_cvt_f32_f16_e32 v8, v8
	v_or_b32_e32 v5, v10, v5
	v_lshl_or_b32 v7, v9, 12, v0
	v_cmp_gt_i32_e32 vcc, 1, v9
	v_cndmask_b32_e32 v5, v7, v5, vcc
	v_and_b32_e32 v7, 7, v5
	v_cmp_lt_i32_e32 vcc, 5, v7
	v_cmp_eq_u32_e64 s[2:3], 3, v7
	v_cvt_f64_f32_e32 v[7:8], v8
	v_lshrrev_b32_e32 v5, 2, v5
	s_or_b64 vcc, s[2:3], vcc
	v_addc_co_u32_e32 v5, vcc, 0, v5, vcc
	v_mul_f64 v[7:8], v[7:8], s[12:13]
	v_cmp_gt_i32_e32 vcc, 31, v9
	v_cndmask_b32_e32 v5, v2, v5, vcc
	v_cmp_ne_u32_e32 vcc, 0, v0
	v_cndmask_b32_e64 v0, 0, 1, vcc
	v_lshl_or_b32 v0, v0, 9, v2
	v_cmp_eq_u32_e32 vcc, s11, v9
	v_cndmask_b32_e32 v0, v5, v0, vcc
	v_lshrrev_b32_e32 v5, 16, v6
	v_and_or_b32 v0, v5, s14, v0
	v_and_or_b32 v5, v8, s15, v7
	v_cmp_ne_u32_e32 vcc, 0, v5
	v_cndmask_b32_e64 v5, 0, 1, vcc
	v_lshrrev_b32_e32 v6, 8, v8
	v_and_or_b32 v7, v6, s10, v5
	v_bfe_u32 v6, v8, 20, 11
	v_sub_u32_e32 v9, 0x3f1, v6
	v_or_b32_e32 v5, 0x1000, v7
	v_med3_i32 v9, v9, 0, 13
	v_lshrrev_b32_e32 v10, v9, v5
	v_lshlrev_b32_e32 v9, v9, v10
	v_cmp_ne_u32_e32 vcc, v9, v5
	v_cndmask_b32_e64 v5, 0, 1, vcc
	v_add_u32_e32 v11, 0xfffffc10, v6
	v_or_b32_e32 v5, v10, v5
	v_lshl_or_b32 v6, v11, 12, v7
	v_cmp_gt_i32_e32 vcc, 1, v11
	v_cndmask_b32_e32 v5, v6, v5, vcc
	v_and_b32_e32 v6, 7, v5
	v_lshrrev_b32_e32 v9, 2, v5
	v_add_u32_e32 v5, 0xc00, v67
	v_cmp_lt_i32_e32 vcc, 5, v6
	v_cmp_eq_u32_e64 s[2:3], 3, v6
	ds_read2_b32 v[5:6], v5 offset0:42 offset1:177
	s_or_b64 vcc, s[2:3], vcc
	v_addc_co_u32_e32 v9, vcc, 0, v9, vcc
	v_cmp_gt_i32_e32 vcc, 31, v11
	s_waitcnt lgkmcnt(0)
	v_lshrrev_b32_e32 v20, 16, v5
	v_cndmask_b32_e32 v14, v2, v9, vcc
	v_mul_f16_sdwa v9, v74, v20 dst_sel:DWORD dst_unused:UNUSED_PAD src0_sel:WORD_1 src1_sel:DWORD
	v_fma_f16 v9, v74, v5, v9
	v_cvt_f32_f16_e32 v9, v9
	v_cmp_ne_u32_e32 vcc, 0, v7
	v_cndmask_b32_e64 v7, 0, 1, vcc
	v_lshl_or_b32 v7, v7, 9, v2
	v_cvt_f64_f32_e32 v[9:10], v9
	v_cmp_eq_u32_e32 vcc, s11, v11
	v_cndmask_b32_e32 v7, v14, v7, vcc
	v_lshrrev_b32_e32 v8, 16, v8
	v_and_or_b32 v11, v8, s14, v7
	v_mul_f64 v[7:8], v[9:10], s[12:13]
	v_and_b32_e32 v0, 0xffff, v0
	v_add_co_u32_e32 v3, vcc, s6, v3
	v_lshl_or_b32 v0, v11, 16, v0
	v_addc_co_u32_e32 v4, vcc, v4, v1, vcc
	global_store_dword v[3:4], v0, off
	v_and_or_b32 v0, v8, s15, v7
	v_cmp_ne_u32_e32 vcc, 0, v0
	v_cndmask_b32_e64 v0, 0, 1, vcc
	v_lshrrev_b32_e32 v7, 8, v8
	v_bfe_u32 v9, v8, 20, 11
	v_and_or_b32 v0, v7, s10, v0
	v_sub_u32_e32 v10, 0x3f1, v9
	v_or_b32_e32 v7, 0x1000, v0
	v_med3_i32 v10, v10, 0, 13
	v_lshrrev_b32_e32 v11, v10, v7
	v_lshlrev_b32_e32 v10, v10, v11
	v_cmp_ne_u32_e32 vcc, v10, v7
	v_mul_f16_sdwa v5, v74, v5 dst_sel:DWORD dst_unused:UNUSED_PAD src0_sel:WORD_1 src1_sel:DWORD
	v_cndmask_b32_e64 v7, 0, 1, vcc
	v_fma_f16 v5, v74, v20, -v5
	v_or_b32_e32 v7, v11, v7
	v_add_u32_e32 v11, 0xfffffc10, v9
	v_cvt_f32_f16_e32 v5, v5
	v_lshl_or_b32 v9, v11, 12, v0
	v_cmp_gt_i32_e32 vcc, 1, v11
	v_cndmask_b32_e32 v7, v9, v7, vcc
	v_and_b32_e32 v9, 7, v7
	v_cmp_lt_i32_e32 vcc, 5, v9
	v_cmp_eq_u32_e64 s[2:3], 3, v9
	v_cvt_f64_f32_e32 v[9:10], v5
	v_lshrrev_b32_e32 v7, 2, v7
	s_or_b64 vcc, s[2:3], vcc
	v_addc_co_u32_e32 v5, vcc, 0, v7, vcc
	v_mul_f64 v[9:10], v[9:10], s[12:13]
	v_cmp_gt_i32_e32 vcc, 31, v11
	v_cndmask_b32_e32 v5, v2, v5, vcc
	v_cmp_ne_u32_e32 vcc, 0, v0
	v_cndmask_b32_e64 v0, 0, 1, vcc
	v_lshl_or_b32 v0, v0, 9, v2
	v_cmp_eq_u32_e32 vcc, s11, v11
	v_cndmask_b32_e32 v0, v5, v0, vcc
	v_lshrrev_b32_e32 v5, 16, v8
	v_and_or_b32 v0, v5, s14, v0
	v_and_or_b32 v5, v10, s15, v9
	v_cmp_ne_u32_e32 vcc, 0, v5
	v_cndmask_b32_e64 v5, 0, 1, vcc
	v_lshrrev_b32_e32 v7, 8, v10
	v_bfe_u32 v8, v10, 20, 11
	v_and_or_b32 v5, v7, s10, v5
	v_sub_u32_e32 v9, 0x3f1, v8
	v_or_b32_e32 v7, 0x1000, v5
	v_med3_i32 v9, v9, 0, 13
	v_lshrrev_b32_e32 v11, v9, v7
	v_lshlrev_b32_e32 v9, v9, v11
	v_cmp_ne_u32_e32 vcc, v9, v7
	v_cndmask_b32_e64 v7, 0, 1, vcc
	v_add_u32_e32 v9, 0xfffffc10, v8
	v_or_b32_e32 v7, v11, v7
	v_lshl_or_b32 v8, v9, 12, v5
	v_cmp_gt_i32_e32 vcc, 1, v9
	v_cndmask_b32_e32 v7, v8, v7, vcc
	v_and_b32_e32 v8, 7, v7
	v_cmp_lt_i32_e32 vcc, 5, v8
	v_cmp_eq_u32_e64 s[2:3], 3, v8
	v_lshrrev_b32_e32 v7, 2, v7
	s_or_b64 vcc, s[2:3], vcc
	v_addc_co_u32_e32 v7, vcc, 0, v7, vcc
	v_cmp_gt_i32_e32 vcc, 31, v9
	v_lshrrev_b32_e32 v14, 16, v6
	v_cndmask_b32_e32 v11, v2, v7, vcc
	v_mul_f16_sdwa v7, v73, v14 dst_sel:DWORD dst_unused:UNUSED_PAD src0_sel:WORD_1 src1_sel:DWORD
	v_fma_f16 v7, v73, v6, v7
	v_cvt_f32_f16_e32 v7, v7
	v_cmp_ne_u32_e32 vcc, 0, v5
	v_cndmask_b32_e64 v5, 0, 1, vcc
	v_lshl_or_b32 v5, v5, 9, v2
	v_cvt_f64_f32_e32 v[7:8], v7
	v_cmp_eq_u32_e32 vcc, s11, v9
	v_cndmask_b32_e32 v5, v11, v5, vcc
	v_lshrrev_b32_e32 v9, 16, v10
	v_mul_f64 v[7:8], v[7:8], s[12:13]
	v_and_or_b32 v5, v9, s14, v5
	v_and_b32_e32 v0, 0xffff, v0
	v_add_co_u32_e32 v3, vcc, s6, v3
	v_lshl_or_b32 v0, v5, 16, v0
	v_addc_co_u32_e32 v4, vcc, v4, v1, vcc
	global_store_dword v[3:4], v0, off
	v_and_or_b32 v0, v8, s15, v7
	v_cmp_ne_u32_e32 vcc, 0, v0
	v_cndmask_b32_e64 v0, 0, 1, vcc
	v_lshrrev_b32_e32 v5, 8, v8
	v_bfe_u32 v7, v8, 20, 11
	v_and_or_b32 v0, v5, s10, v0
	v_sub_u32_e32 v9, 0x3f1, v7
	v_or_b32_e32 v5, 0x1000, v0
	v_med3_i32 v9, v9, 0, 13
	v_lshrrev_b32_e32 v10, v9, v5
	v_lshlrev_b32_e32 v9, v9, v10
	v_mul_f16_sdwa v6, v73, v6 dst_sel:DWORD dst_unused:UNUSED_PAD src0_sel:WORD_1 src1_sel:DWORD
	v_cmp_ne_u32_e32 vcc, v9, v5
	v_fma_f16 v6, v73, v14, -v6
	v_cndmask_b32_e64 v5, 0, 1, vcc
	v_add_u32_e32 v7, 0xfffffc10, v7
	v_cvt_f32_f16_e32 v6, v6
	v_or_b32_e32 v5, v10, v5
	v_lshl_or_b32 v9, v7, 12, v0
	v_cmp_gt_i32_e32 vcc, 1, v7
	v_cndmask_b32_e32 v5, v9, v5, vcc
	v_and_b32_e32 v9, 7, v5
	v_cmp_lt_i32_e32 vcc, 5, v9
	v_cmp_eq_u32_e64 s[2:3], 3, v9
	v_lshrrev_b32_e32 v9, 2, v5
	v_cvt_f64_f32_e32 v[5:6], v6
	s_or_b64 vcc, s[2:3], vcc
	v_addc_co_u32_e32 v9, vcc, 0, v9, vcc
	v_mul_f64 v[5:6], v[5:6], s[12:13]
	v_cmp_gt_i32_e32 vcc, 31, v7
	v_cndmask_b32_e32 v9, v2, v9, vcc
	v_cmp_ne_u32_e32 vcc, 0, v0
	v_cndmask_b32_e64 v0, 0, 1, vcc
	v_lshl_or_b32 v0, v0, 9, v2
	v_cmp_eq_u32_e32 vcc, s11, v7
	v_cndmask_b32_e32 v0, v9, v0, vcc
	v_and_or_b32 v5, v6, s15, v5
	v_lshrrev_b32_e32 v7, 16, v8
	v_cmp_ne_u32_e32 vcc, 0, v5
	v_and_or_b32 v0, v7, s14, v0
	v_cndmask_b32_e64 v5, 0, 1, vcc
	v_lshrrev_b32_e32 v7, 8, v6
	v_bfe_u32 v8, v6, 20, 11
	v_and_or_b32 v5, v7, s10, v5
	v_sub_u32_e32 v9, 0x3f1, v8
	v_or_b32_e32 v7, 0x1000, v5
	v_med3_i32 v9, v9, 0, 13
	v_lshrrev_b32_e32 v10, v9, v7
	v_lshlrev_b32_e32 v9, v9, v10
	v_cmp_ne_u32_e32 vcc, v9, v7
	v_cndmask_b32_e64 v7, 0, 1, vcc
	v_add_u32_e32 v11, 0xfffffc10, v8
	v_or_b32_e32 v7, v10, v7
	v_lshl_or_b32 v8, v11, 12, v5
	v_cmp_gt_i32_e32 vcc, 1, v11
	v_cndmask_b32_e32 v7, v8, v7, vcc
	v_and_b32_e32 v8, 7, v7
	v_lshrrev_b32_e32 v9, 2, v7
	v_add_u32_e32 v7, 0x1000, v67
	v_cmp_lt_i32_e32 vcc, 5, v8
	v_cmp_eq_u32_e64 s[2:3], 3, v8
	ds_read2_b32 v[7:8], v7 offset0:56 offset1:191
	s_or_b64 vcc, s[2:3], vcc
	v_addc_co_u32_e32 v9, vcc, 0, v9, vcc
	v_cmp_gt_i32_e32 vcc, 31, v11
	s_waitcnt lgkmcnt(0)
	v_lshrrev_b32_e32 v20, 16, v7
	v_cndmask_b32_e32 v14, v2, v9, vcc
	v_mul_f16_sdwa v9, v72, v20 dst_sel:DWORD dst_unused:UNUSED_PAD src0_sel:WORD_1 src1_sel:DWORD
	v_fma_f16 v9, v72, v7, v9
	v_cvt_f32_f16_e32 v9, v9
	v_cmp_ne_u32_e32 vcc, 0, v5
	v_cndmask_b32_e64 v5, 0, 1, vcc
	v_lshl_or_b32 v5, v5, 9, v2
	v_cvt_f64_f32_e32 v[9:10], v9
	v_cmp_eq_u32_e32 vcc, s11, v11
	v_cndmask_b32_e32 v5, v14, v5, vcc
	v_lshrrev_b32_e32 v6, 16, v6
	v_and_or_b32 v11, v6, s14, v5
	v_mul_f64 v[5:6], v[9:10], s[12:13]
	v_and_b32_e32 v0, 0xffff, v0
	v_add_co_u32_e32 v3, vcc, s6, v3
	v_lshl_or_b32 v0, v11, 16, v0
	v_addc_co_u32_e32 v4, vcc, v4, v1, vcc
	global_store_dword v[3:4], v0, off
	v_and_or_b32 v0, v6, s15, v5
	v_cmp_ne_u32_e32 vcc, 0, v0
	v_cndmask_b32_e64 v0, 0, 1, vcc
	v_lshrrev_b32_e32 v5, 8, v6
	v_bfe_u32 v9, v6, 20, 11
	v_and_or_b32 v0, v5, s10, v0
	v_sub_u32_e32 v10, 0x3f1, v9
	v_or_b32_e32 v5, 0x1000, v0
	v_med3_i32 v10, v10, 0, 13
	v_lshrrev_b32_e32 v11, v10, v5
	v_lshlrev_b32_e32 v10, v10, v11
	v_cmp_ne_u32_e32 vcc, v10, v5
	v_mul_f16_sdwa v7, v72, v7 dst_sel:DWORD dst_unused:UNUSED_PAD src0_sel:WORD_1 src1_sel:DWORD
	v_cndmask_b32_e64 v5, 0, 1, vcc
	v_fma_f16 v7, v72, v20, -v7
	v_or_b32_e32 v5, v11, v5
	v_add_u32_e32 v11, 0xfffffc10, v9
	v_cvt_f32_f16_e32 v7, v7
	v_lshl_or_b32 v9, v11, 12, v0
	v_cmp_gt_i32_e32 vcc, 1, v11
	v_cndmask_b32_e32 v5, v9, v5, vcc
	v_and_b32_e32 v9, 7, v5
	v_cmp_lt_i32_e32 vcc, 5, v9
	v_cmp_eq_u32_e64 s[2:3], 3, v9
	v_cvt_f64_f32_e32 v[9:10], v7
	v_lshrrev_b32_e32 v5, 2, v5
	s_or_b64 vcc, s[2:3], vcc
	v_addc_co_u32_e32 v5, vcc, 0, v5, vcc
	v_mul_f64 v[9:10], v[9:10], s[12:13]
	v_cmp_gt_i32_e32 vcc, 31, v11
	v_cndmask_b32_e32 v5, v2, v5, vcc
	v_cmp_ne_u32_e32 vcc, 0, v0
	v_cndmask_b32_e64 v0, 0, 1, vcc
	v_lshl_or_b32 v0, v0, 9, v2
	v_cmp_eq_u32_e32 vcc, s11, v11
	v_cndmask_b32_e32 v0, v5, v0, vcc
	v_lshrrev_b32_e32 v5, 16, v6
	v_and_or_b32 v0, v5, s14, v0
	v_and_or_b32 v5, v10, s15, v9
	v_cmp_ne_u32_e32 vcc, 0, v5
	v_cndmask_b32_e64 v5, 0, 1, vcc
	v_lshrrev_b32_e32 v6, 8, v10
	v_bfe_u32 v7, v10, 20, 11
	v_and_or_b32 v5, v6, s10, v5
	v_sub_u32_e32 v9, 0x3f1, v7
	v_or_b32_e32 v6, 0x1000, v5
	v_med3_i32 v9, v9, 0, 13
	v_lshrrev_b32_e32 v11, v9, v6
	v_lshlrev_b32_e32 v9, v9, v11
	v_cmp_ne_u32_e32 vcc, v9, v6
	v_cndmask_b32_e64 v6, 0, 1, vcc
	v_add_u32_e32 v7, 0xfffffc10, v7
	v_or_b32_e32 v6, v11, v6
	v_lshl_or_b32 v9, v7, 12, v5
	v_cmp_gt_i32_e32 vcc, 1, v7
	v_cndmask_b32_e32 v6, v9, v6, vcc
	v_and_b32_e32 v9, 7, v6
	v_cmp_lt_i32_e32 vcc, 5, v9
	v_cmp_eq_u32_e64 s[2:3], 3, v9
	v_lshrrev_b32_e32 v6, 2, v6
	s_or_b64 vcc, s[2:3], vcc
	v_addc_co_u32_e32 v6, vcc, 0, v6, vcc
	v_cmp_gt_i32_e32 vcc, 31, v7
	v_lshrrev_b32_e32 v11, 16, v8
	v_cndmask_b32_e32 v9, v2, v6, vcc
	v_mul_f16_sdwa v6, v71, v11 dst_sel:DWORD dst_unused:UNUSED_PAD src0_sel:WORD_1 src1_sel:DWORD
	v_fma_f16 v6, v71, v8, v6
	v_cvt_f32_f16_e32 v6, v6
	v_cmp_ne_u32_e32 vcc, 0, v5
	v_cndmask_b32_e64 v5, 0, 1, vcc
	v_lshl_or_b32 v14, v5, 9, v2
	v_cvt_f64_f32_e32 v[5:6], v6
	v_cmp_eq_u32_e32 vcc, s11, v7
	v_cndmask_b32_e32 v7, v9, v14, vcc
	v_lshrrev_b32_e32 v9, 16, v10
	v_mul_f64 v[5:6], v[5:6], s[12:13]
	v_and_or_b32 v7, v9, s14, v7
	v_and_b32_e32 v0, 0xffff, v0
	v_add_co_u32_e32 v3, vcc, s6, v3
	v_lshl_or_b32 v0, v7, 16, v0
	v_addc_co_u32_e32 v4, vcc, v4, v1, vcc
	global_store_dword v[3:4], v0, off
	v_and_or_b32 v0, v6, s15, v5
	v_cmp_ne_u32_e32 vcc, 0, v0
	v_cndmask_b32_e64 v0, 0, 1, vcc
	v_lshrrev_b32_e32 v5, 8, v6
	v_bfe_u32 v7, v6, 20, 11
	v_and_or_b32 v0, v5, s10, v0
	v_sub_u32_e32 v9, 0x3f1, v7
	v_or_b32_e32 v5, 0x1000, v0
	v_med3_i32 v9, v9, 0, 13
	v_lshrrev_b32_e32 v10, v9, v5
	v_lshlrev_b32_e32 v9, v9, v10
	v_mul_f16_sdwa v8, v71, v8 dst_sel:DWORD dst_unused:UNUSED_PAD src0_sel:WORD_1 src1_sel:DWORD
	v_cmp_ne_u32_e32 vcc, v9, v5
	v_fma_f16 v8, v71, v11, -v8
	v_cndmask_b32_e64 v5, 0, 1, vcc
	v_add_u32_e32 v9, 0xfffffc10, v7
	v_cvt_f32_f16_e32 v8, v8
	v_or_b32_e32 v5, v10, v5
	v_lshl_or_b32 v7, v9, 12, v0
	v_cmp_gt_i32_e32 vcc, 1, v9
	v_cndmask_b32_e32 v5, v7, v5, vcc
	v_and_b32_e32 v7, 7, v5
	v_cmp_lt_i32_e32 vcc, 5, v7
	v_cmp_eq_u32_e64 s[2:3], 3, v7
	v_cvt_f64_f32_e32 v[7:8], v8
	v_lshrrev_b32_e32 v5, 2, v5
	s_or_b64 vcc, s[2:3], vcc
	v_addc_co_u32_e32 v5, vcc, 0, v5, vcc
	v_mul_f64 v[7:8], v[7:8], s[12:13]
	v_cmp_gt_i32_e32 vcc, 31, v9
	v_cndmask_b32_e32 v5, v2, v5, vcc
	v_cmp_ne_u32_e32 vcc, 0, v0
	v_cndmask_b32_e64 v0, 0, 1, vcc
	v_lshl_or_b32 v0, v0, 9, v2
	v_cmp_eq_u32_e32 vcc, s11, v9
	v_cndmask_b32_e32 v0, v5, v0, vcc
	v_lshrrev_b32_e32 v5, 16, v6
	v_and_or_b32 v0, v5, s14, v0
	v_and_or_b32 v5, v8, s15, v7
	v_cmp_ne_u32_e32 vcc, 0, v5
	v_cndmask_b32_e64 v5, 0, 1, vcc
	v_lshrrev_b32_e32 v6, 8, v8
	v_and_or_b32 v7, v6, s10, v5
	v_bfe_u32 v6, v8, 20, 11
	v_sub_u32_e32 v9, 0x3f1, v6
	v_or_b32_e32 v5, 0x1000, v7
	v_med3_i32 v9, v9, 0, 13
	v_lshrrev_b32_e32 v10, v9, v5
	v_lshlrev_b32_e32 v9, v9, v10
	v_cmp_ne_u32_e32 vcc, v9, v5
	v_cndmask_b32_e64 v5, 0, 1, vcc
	v_add_u32_e32 v11, 0xfffffc10, v6
	v_or_b32_e32 v5, v10, v5
	v_lshl_or_b32 v6, v11, 12, v7
	v_cmp_gt_i32_e32 vcc, 1, v11
	v_cndmask_b32_e32 v5, v6, v5, vcc
	v_and_b32_e32 v6, 7, v5
	v_cmp_lt_i32_e32 vcc, 5, v6
	v_cmp_eq_u32_e64 s[2:3], 3, v6
	v_lshrrev_b32_e32 v9, 2, v5
	ds_read2_b32 v[5:6], v19 offset0:70 offset1:205
	s_or_b64 vcc, s[2:3], vcc
	v_addc_co_u32_e32 v9, vcc, 0, v9, vcc
	v_cmp_gt_i32_e32 vcc, 31, v11
	s_waitcnt lgkmcnt(0)
	v_lshrrev_b32_e32 v19, 16, v5
	v_cndmask_b32_e32 v14, v2, v9, vcc
	v_mul_f16_sdwa v9, v70, v19 dst_sel:DWORD dst_unused:UNUSED_PAD src0_sel:WORD_1 src1_sel:DWORD
	v_fma_f16 v9, v70, v5, v9
	v_cvt_f32_f16_e32 v9, v9
	v_cmp_ne_u32_e32 vcc, 0, v7
	v_cndmask_b32_e64 v7, 0, 1, vcc
	v_lshl_or_b32 v7, v7, 9, v2
	v_cvt_f64_f32_e32 v[9:10], v9
	v_cmp_eq_u32_e32 vcc, s11, v11
	v_cndmask_b32_e32 v7, v14, v7, vcc
	v_lshrrev_b32_e32 v8, 16, v8
	v_and_or_b32 v11, v8, s14, v7
	v_mul_f64 v[7:8], v[9:10], s[12:13]
	v_and_b32_e32 v0, 0xffff, v0
	v_add_co_u32_e32 v3, vcc, s6, v3
	v_lshl_or_b32 v0, v11, 16, v0
	v_addc_co_u32_e32 v4, vcc, v4, v1, vcc
	global_store_dword v[3:4], v0, off
	v_and_or_b32 v0, v8, s15, v7
	v_cmp_ne_u32_e32 vcc, 0, v0
	v_cndmask_b32_e64 v0, 0, 1, vcc
	v_lshrrev_b32_e32 v7, 8, v8
	v_bfe_u32 v9, v8, 20, 11
	v_and_or_b32 v0, v7, s10, v0
	v_sub_u32_e32 v10, 0x3f1, v9
	v_or_b32_e32 v7, 0x1000, v0
	v_med3_i32 v10, v10, 0, 13
	v_lshrrev_b32_e32 v11, v10, v7
	v_lshlrev_b32_e32 v10, v10, v11
	v_cmp_ne_u32_e32 vcc, v10, v7
	v_mul_f16_sdwa v5, v70, v5 dst_sel:DWORD dst_unused:UNUSED_PAD src0_sel:WORD_1 src1_sel:DWORD
	v_cndmask_b32_e64 v7, 0, 1, vcc
	v_fma_f16 v5, v70, v19, -v5
	v_or_b32_e32 v7, v11, v7
	v_add_u32_e32 v11, 0xfffffc10, v9
	v_cvt_f32_f16_e32 v5, v5
	v_lshl_or_b32 v9, v11, 12, v0
	v_cmp_gt_i32_e32 vcc, 1, v11
	v_cndmask_b32_e32 v7, v9, v7, vcc
	v_and_b32_e32 v9, 7, v7
	v_cmp_lt_i32_e32 vcc, 5, v9
	v_cmp_eq_u32_e64 s[2:3], 3, v9
	v_cvt_f64_f32_e32 v[9:10], v5
	v_lshrrev_b32_e32 v7, 2, v7
	s_or_b64 vcc, s[2:3], vcc
	v_addc_co_u32_e32 v5, vcc, 0, v7, vcc
	v_mul_f64 v[9:10], v[9:10], s[12:13]
	v_cmp_gt_i32_e32 vcc, 31, v11
	v_cndmask_b32_e32 v5, v2, v5, vcc
	v_cmp_ne_u32_e32 vcc, 0, v0
	v_cndmask_b32_e64 v0, 0, 1, vcc
	v_lshl_or_b32 v0, v0, 9, v2
	v_cmp_eq_u32_e32 vcc, s11, v11
	v_cndmask_b32_e32 v0, v5, v0, vcc
	v_lshrrev_b32_e32 v5, 16, v8
	v_and_or_b32 v0, v5, s14, v0
	v_and_or_b32 v5, v10, s15, v9
	v_cmp_ne_u32_e32 vcc, 0, v5
	v_cndmask_b32_e64 v5, 0, 1, vcc
	v_lshrrev_b32_e32 v7, 8, v10
	v_bfe_u32 v8, v10, 20, 11
	v_and_or_b32 v5, v7, s10, v5
	v_sub_u32_e32 v9, 0x3f1, v8
	v_or_b32_e32 v7, 0x1000, v5
	v_med3_i32 v9, v9, 0, 13
	v_lshrrev_b32_e32 v11, v9, v7
	v_lshlrev_b32_e32 v9, v9, v11
	v_cmp_ne_u32_e32 vcc, v9, v7
	v_cndmask_b32_e64 v7, 0, 1, vcc
	v_add_u32_e32 v9, 0xfffffc10, v8
	v_or_b32_e32 v7, v11, v7
	v_lshl_or_b32 v8, v9, 12, v5
	v_cmp_gt_i32_e32 vcc, 1, v9
	v_cndmask_b32_e32 v7, v8, v7, vcc
	v_and_b32_e32 v8, 7, v7
	v_cmp_lt_i32_e32 vcc, 5, v8
	v_cmp_eq_u32_e64 s[2:3], 3, v8
	v_lshrrev_b32_e32 v7, 2, v7
	s_or_b64 vcc, s[2:3], vcc
	v_addc_co_u32_e32 v7, vcc, 0, v7, vcc
	v_cmp_gt_i32_e32 vcc, 31, v9
	v_lshrrev_b32_e32 v14, 16, v6
	v_cndmask_b32_e32 v11, v2, v7, vcc
	v_mul_f16_sdwa v7, v69, v14 dst_sel:DWORD dst_unused:UNUSED_PAD src0_sel:WORD_1 src1_sel:DWORD
	v_fma_f16 v7, v69, v6, v7
	v_cvt_f32_f16_e32 v7, v7
	v_cmp_ne_u32_e32 vcc, 0, v5
	v_cndmask_b32_e64 v5, 0, 1, vcc
	v_lshl_or_b32 v5, v5, 9, v2
	v_cvt_f64_f32_e32 v[7:8], v7
	v_cmp_eq_u32_e32 vcc, s11, v9
	v_cndmask_b32_e32 v5, v11, v5, vcc
	v_lshrrev_b32_e32 v9, 16, v10
	v_mul_f64 v[7:8], v[7:8], s[12:13]
	v_and_or_b32 v5, v9, s14, v5
	v_and_b32_e32 v0, 0xffff, v0
	v_add_co_u32_e32 v3, vcc, s6, v3
	v_lshl_or_b32 v0, v5, 16, v0
	v_addc_co_u32_e32 v4, vcc, v4, v1, vcc
	global_store_dword v[3:4], v0, off
	v_and_or_b32 v0, v8, s15, v7
	v_cmp_ne_u32_e32 vcc, 0, v0
	v_cndmask_b32_e64 v0, 0, 1, vcc
	v_lshrrev_b32_e32 v5, 8, v8
	v_bfe_u32 v7, v8, 20, 11
	v_and_or_b32 v0, v5, s10, v0
	v_sub_u32_e32 v9, 0x3f1, v7
	v_or_b32_e32 v5, 0x1000, v0
	v_med3_i32 v9, v9, 0, 13
	v_lshrrev_b32_e32 v10, v9, v5
	v_lshlrev_b32_e32 v9, v9, v10
	v_mul_f16_sdwa v6, v69, v6 dst_sel:DWORD dst_unused:UNUSED_PAD src0_sel:WORD_1 src1_sel:DWORD
	v_cmp_ne_u32_e32 vcc, v9, v5
	v_fma_f16 v6, v69, v14, -v6
	v_cndmask_b32_e64 v5, 0, 1, vcc
	v_add_u32_e32 v7, 0xfffffc10, v7
	v_cvt_f32_f16_e32 v6, v6
	v_or_b32_e32 v5, v10, v5
	v_lshl_or_b32 v9, v7, 12, v0
	v_cmp_gt_i32_e32 vcc, 1, v7
	v_cndmask_b32_e32 v5, v9, v5, vcc
	v_and_b32_e32 v9, 7, v5
	v_cmp_lt_i32_e32 vcc, 5, v9
	v_cmp_eq_u32_e64 s[2:3], 3, v9
	v_lshrrev_b32_e32 v9, 2, v5
	v_cvt_f64_f32_e32 v[5:6], v6
	s_or_b64 vcc, s[2:3], vcc
	v_addc_co_u32_e32 v9, vcc, 0, v9, vcc
	v_mul_f64 v[5:6], v[5:6], s[12:13]
	v_cmp_gt_i32_e32 vcc, 31, v7
	v_cndmask_b32_e32 v9, v2, v9, vcc
	v_cmp_ne_u32_e32 vcc, 0, v0
	v_cndmask_b32_e64 v0, 0, 1, vcc
	v_lshl_or_b32 v0, v0, 9, v2
	v_cmp_eq_u32_e32 vcc, s11, v7
	v_cndmask_b32_e32 v0, v9, v0, vcc
	v_and_or_b32 v5, v6, s15, v5
	v_lshrrev_b32_e32 v7, 16, v8
	v_cmp_ne_u32_e32 vcc, 0, v5
	v_and_or_b32 v0, v7, s14, v0
	v_cndmask_b32_e64 v5, 0, 1, vcc
	v_lshrrev_b32_e32 v7, 8, v6
	v_bfe_u32 v8, v6, 20, 11
	v_and_or_b32 v5, v7, s10, v5
	v_sub_u32_e32 v9, 0x3f1, v8
	v_or_b32_e32 v7, 0x1000, v5
	v_med3_i32 v9, v9, 0, 13
	v_lshrrev_b32_e32 v10, v9, v7
	v_lshlrev_b32_e32 v9, v9, v10
	v_cmp_ne_u32_e32 vcc, v9, v7
	v_cndmask_b32_e64 v7, 0, 1, vcc
	v_add_u32_e32 v9, 0xfffffc10, v8
	v_or_b32_e32 v7, v10, v7
	v_lshl_or_b32 v8, v9, 12, v5
	v_cmp_gt_i32_e32 vcc, 1, v9
	v_cndmask_b32_e32 v7, v8, v7, vcc
	ds_read_b32 v10, v67 offset:6480
	v_and_b32_e32 v8, 7, v7
	v_cmp_lt_i32_e32 vcc, 5, v8
	v_cmp_eq_u32_e64 s[2:3], 3, v8
	v_lshrrev_b32_e32 v7, 2, v7
	s_or_b64 vcc, s[2:3], vcc
	v_addc_co_u32_e32 v7, vcc, 0, v7, vcc
	v_cmp_gt_i32_e32 vcc, 31, v9
	s_waitcnt lgkmcnt(0)
	v_lshrrev_b32_e32 v14, 16, v10
	v_cndmask_b32_e32 v11, v2, v7, vcc
	v_mul_f16_sdwa v7, v68, v14 dst_sel:DWORD dst_unused:UNUSED_PAD src0_sel:WORD_1 src1_sel:DWORD
	v_fma_f16 v7, v68, v10, v7
	v_cvt_f32_f16_e32 v7, v7
	v_cmp_ne_u32_e32 vcc, 0, v5
	v_cndmask_b32_e64 v5, 0, 1, vcc
	v_lshl_or_b32 v5, v5, 9, v2
	v_cvt_f64_f32_e32 v[7:8], v7
	v_cmp_eq_u32_e32 vcc, s11, v9
	v_cndmask_b32_e32 v5, v11, v5, vcc
	v_lshrrev_b32_e32 v6, 16, v6
	v_and_or_b32 v9, v6, s14, v5
	v_mul_f64 v[5:6], v[7:8], s[12:13]
	v_and_b32_e32 v0, 0xffff, v0
	v_add_co_u32_e32 v3, vcc, s6, v3
	v_lshl_or_b32 v0, v9, 16, v0
	v_addc_co_u32_e32 v4, vcc, v4, v1, vcc
	global_store_dword v[3:4], v0, off
	v_and_or_b32 v0, v6, s15, v5
	v_cmp_ne_u32_e32 vcc, 0, v0
	v_cndmask_b32_e64 v0, 0, 1, vcc
	v_lshrrev_b32_e32 v5, 8, v6
	v_bfe_u32 v7, v6, 20, 11
	v_and_or_b32 v0, v5, s10, v0
	v_sub_u32_e32 v8, 0x3f1, v7
	v_or_b32_e32 v5, 0x1000, v0
	v_med3_i32 v8, v8, 0, 13
	v_lshrrev_b32_e32 v9, v8, v5
	v_lshlrev_b32_e32 v8, v8, v9
	v_cmp_ne_u32_e32 vcc, v8, v5
	v_mul_f16_sdwa v8, v68, v10 dst_sel:DWORD dst_unused:UNUSED_PAD src0_sel:WORD_1 src1_sel:DWORD
	v_cndmask_b32_e64 v5, 0, 1, vcc
	v_fma_f16 v8, v68, v14, -v8
	v_or_b32_e32 v5, v9, v5
	v_add_u32_e32 v9, 0xfffffc10, v7
	v_cvt_f32_f16_e32 v8, v8
	v_lshl_or_b32 v7, v9, 12, v0
	v_cmp_gt_i32_e32 vcc, 1, v9
	v_cndmask_b32_e32 v5, v7, v5, vcc
	v_and_b32_e32 v7, 7, v5
	v_cmp_lt_i32_e32 vcc, 5, v7
	v_cmp_eq_u32_e64 s[2:3], 3, v7
	v_cvt_f64_f32_e32 v[7:8], v8
	v_lshrrev_b32_e32 v5, 2, v5
	s_or_b64 vcc, s[2:3], vcc
	v_addc_co_u32_e32 v5, vcc, 0, v5, vcc
	v_mul_f64 v[7:8], v[7:8], s[12:13]
	v_cmp_gt_i32_e32 vcc, 31, v9
	v_cndmask_b32_e32 v5, v2, v5, vcc
	v_cmp_ne_u32_e32 vcc, 0, v0
	v_cndmask_b32_e64 v0, 0, 1, vcc
	v_lshl_or_b32 v0, v0, 9, v2
	v_cmp_eq_u32_e32 vcc, s11, v9
	v_cndmask_b32_e32 v0, v5, v0, vcc
	v_lshrrev_b32_e32 v5, 16, v6
	v_and_or_b32 v0, v5, s14, v0
	v_and_or_b32 v5, v8, s15, v7
	v_cmp_ne_u32_e32 vcc, 0, v5
	v_cndmask_b32_e64 v5, 0, 1, vcc
	v_lshrrev_b32_e32 v6, 8, v8
	v_bfe_u32 v7, v8, 20, 11
	v_and_or_b32 v5, v6, s10, v5
	v_sub_u32_e32 v9, 0x3f1, v7
	v_or_b32_e32 v6, 0x1000, v5
	v_med3_i32 v9, v9, 0, 13
	v_lshrrev_b32_e32 v10, v9, v6
	v_lshlrev_b32_e32 v9, v9, v10
	v_cmp_ne_u32_e32 vcc, v9, v6
	v_cndmask_b32_e64 v6, 0, 1, vcc
	v_add_u32_e32 v7, 0xfffffc10, v7
	v_or_b32_e32 v6, v10, v6
	v_lshl_or_b32 v9, v7, 12, v5
	v_cmp_gt_i32_e32 vcc, 1, v7
	v_cndmask_b32_e32 v6, v9, v6, vcc
	v_and_b32_e32 v9, 7, v6
	v_cmp_lt_i32_e32 vcc, 5, v9
	v_cmp_eq_u32_e64 s[2:3], 3, v9
	v_lshrrev_b32_e32 v6, 2, v6
	s_or_b64 vcc, s[2:3], vcc
	v_addc_co_u32_e32 v6, vcc, 0, v6, vcc
	v_cmp_gt_i32_e32 vcc, 31, v7
	v_cndmask_b32_e32 v6, v2, v6, vcc
	v_cmp_ne_u32_e32 vcc, 0, v5
	v_cndmask_b32_e64 v5, 0, 1, vcc
	v_lshl_or_b32 v5, v5, 9, v2
	v_cmp_eq_u32_e32 vcc, s11, v7
	v_cndmask_b32_e32 v5, v6, v5, vcc
	v_lshrrev_b32_e32 v6, 16, v8
	v_and_or_b32 v5, v6, s14, v5
	v_and_b32_e32 v0, 0xffff, v0
	v_lshl_or_b32 v5, v5, 16, v0
	v_add_co_u32_e32 v0, vcc, s6, v3
	v_addc_co_u32_e32 v1, vcc, v4, v1, vcc
	global_store_dword v[0:1], v5, off
	s_and_b64 exec, exec, s[0:1]
	s_cbranch_execz .LBB0_15
; %bb.14:
	global_load_dword v5, v[12:13], off offset:468
	ds_read2_b32 v[3:4], v67 offset0:117 offset1:252
	s_waitcnt lgkmcnt(0)
	v_lshrrev_b32_e32 v6, 16, v3
	s_waitcnt vmcnt(0)
	v_mul_f16_sdwa v7, v6, v5 dst_sel:DWORD dst_unused:UNUSED_PAD src0_sel:DWORD src1_sel:WORD_1
	v_fma_f16 v7, v3, v5, v7
	v_mul_f16_sdwa v3, v3, v5 dst_sel:DWORD dst_unused:UNUSED_PAD src0_sel:DWORD src1_sel:WORD_1
	v_cvt_f32_f16_e32 v7, v7
	v_fma_f16 v3, v5, v6, -v3
	v_cvt_f32_f16_e32 v3, v3
	v_cvt_f64_f32_e32 v[5:6], v7
	v_cvt_f64_f32_e32 v[7:8], v3
	v_mov_b32_e32 v3, 0xffffe884
	v_mul_f64 v[5:6], v[5:6], s[12:13]
	v_mad_u64_u32 v[0:1], s[0:1], s8, v3, v[0:1]
	v_mul_f64 v[7:8], v[7:8], s[12:13]
	s_mul_i32 s0, s9, 0xffffe884
	s_sub_i32 s0, s0, s8
	v_add_u32_e32 v1, s0, v1
	v_and_or_b32 v3, v6, s15, v5
	v_cmp_ne_u32_e32 vcc, 0, v3
	v_lshrrev_b32_e32 v5, 8, v6
	v_and_or_b32 v7, v8, s15, v7
	v_bfe_u32 v9, v6, 20, 11
	v_cndmask_b32_e64 v3, 0, 1, vcc
	v_cmp_ne_u32_e32 vcc, 0, v7
	v_lshrrev_b32_e32 v10, 8, v8
	v_bfe_u32 v11, v8, 20, 11
	v_sub_u32_e32 v14, 0x3f1, v9
	v_cndmask_b32_e64 v7, 0, 1, vcc
	v_and_or_b32 v3, v5, s10, v3
	v_sub_u32_e32 v19, 0x3f1, v11
	v_med3_i32 v5, v14, 0, 13
	v_and_or_b32 v7, v10, s10, v7
	v_or_b32_e32 v14, 0x1000, v3
	v_add_u32_e32 v9, 0xfffffc10, v9
	v_med3_i32 v10, v19, 0, 13
	v_cmp_ne_u32_e32 vcc, 0, v3
	v_or_b32_e32 v20, 0x1000, v7
	v_lshrrev_b32_e32 v22, v5, v14
	v_add_u32_e32 v11, 0xfffffc10, v11
	v_lshl_or_b32 v19, v9, 12, v3
	v_cndmask_b32_e64 v3, 0, 1, vcc
	v_cmp_ne_u32_e32 vcc, 0, v7
	v_lshrrev_b32_e32 v23, v10, v20
	v_lshlrev_b32_e32 v5, v5, v22
	v_lshl_or_b32 v21, v11, 12, v7
	v_cndmask_b32_e64 v7, 0, 1, vcc
	v_lshlrev_b32_e32 v10, v10, v23
	v_cmp_ne_u32_e32 vcc, v5, v14
	v_cndmask_b32_e64 v5, 0, 1, vcc
	v_cmp_ne_u32_e32 vcc, v10, v20
	v_cndmask_b32_e64 v10, 0, 1, vcc
	v_or_b32_e32 v5, v22, v5
	v_cmp_gt_i32_e32 vcc, 1, v9
	v_cndmask_b32_e32 v5, v19, v5, vcc
	v_or_b32_e32 v10, v23, v10
	v_cmp_gt_i32_e32 vcc, 1, v11
	v_and_b32_e32 v14, 7, v5
	v_cndmask_b32_e32 v10, v21, v10, vcc
	v_cmp_lt_i32_e32 vcc, 5, v14
	v_cmp_eq_u32_e64 s[0:1], 3, v14
	v_lshrrev_b32_e32 v5, 2, v5
	v_and_b32_e32 v19, 7, v10
	s_or_b64 vcc, s[0:1], vcc
	v_cmp_lt_i32_e64 s[2:3], 5, v19
	v_cmp_eq_u32_e64 s[4:5], 3, v19
	v_addc_co_u32_e32 v5, vcc, 0, v5, vcc
	v_lshrrev_b32_e32 v10, 2, v10
	s_or_b64 vcc, s[4:5], s[2:3]
	v_addc_co_u32_e32 v10, vcc, 0, v10, vcc
	v_cmp_gt_i32_e32 vcc, 31, v9
	v_cndmask_b32_e32 v5, v2, v5, vcc
	v_cmp_gt_i32_e32 vcc, 31, v11
	v_lshl_or_b32 v3, v3, 9, v2
	v_cndmask_b32_e32 v10, v2, v10, vcc
	v_cmp_eq_u32_e32 vcc, s11, v9
	v_lshrrev_b32_e32 v6, 16, v6
	v_lshl_or_b32 v7, v7, 9, v2
	v_cndmask_b32_e32 v3, v5, v3, vcc
	v_cmp_eq_u32_e32 vcc, s11, v11
	v_lshrrev_b32_e32 v8, 16, v8
	v_cndmask_b32_e32 v5, v10, v7, vcc
	v_and_or_b32 v3, v6, s14, v3
	v_and_or_b32 v5, v8, s14, v5
	v_and_b32_e32 v3, 0xffff, v3
	v_lshl_or_b32 v3, v5, 16, v3
	global_store_dword v[0:1], v3, off
	global_load_dword v3, v[12:13], off offset:1008
	v_lshrrev_b32_e32 v5, 16, v4
	v_add_co_u32_e32 v0, vcc, s6, v0
	s_waitcnt vmcnt(0)
	v_mul_f16_sdwa v6, v5, v3 dst_sel:DWORD dst_unused:UNUSED_PAD src0_sel:DWORD src1_sel:WORD_1
	v_fma_f16 v6, v4, v3, v6
	v_mul_f16_sdwa v4, v4, v3 dst_sel:DWORD dst_unused:UNUSED_PAD src0_sel:DWORD src1_sel:WORD_1
	v_cvt_f32_f16_e32 v6, v6
	v_fma_f16 v3, v3, v5, -v4
	v_cvt_f32_f16_e32 v5, v3
	v_cvt_f64_f32_e32 v[3:4], v6
	v_cvt_f64_f32_e32 v[5:6], v5
	v_mul_f64 v[7:8], v[3:4], s[12:13]
	v_mov_b32_e32 v3, s7
	v_mul_f64 v[4:5], v[5:6], s[12:13]
	v_addc_co_u32_e32 v1, vcc, v1, v3, vcc
	v_and_or_b32 v6, v8, s15, v7
	v_cmp_ne_u32_e32 vcc, 0, v6
	v_and_or_b32 v4, v5, s15, v4
	v_lshrrev_b32_e32 v7, 8, v8
	v_bfe_u32 v9, v8, 20, 11
	v_cndmask_b32_e64 v6, 0, 1, vcc
	v_cmp_ne_u32_e32 vcc, 0, v4
	v_lshrrev_b32_e32 v10, 8, v5
	v_bfe_u32 v11, v5, 20, 11
	v_sub_u32_e32 v14, 0x3f1, v9
	v_cndmask_b32_e64 v4, 0, 1, vcc
	v_and_or_b32 v6, v7, s10, v6
	v_sub_u32_e32 v19, 0x3f1, v11
	v_med3_i32 v7, v14, 0, 13
	v_and_or_b32 v4, v10, s10, v4
	v_or_b32_e32 v14, 0x1000, v6
	v_add_u32_e32 v9, 0xfffffc10, v9
	v_med3_i32 v10, v19, 0, 13
	v_cmp_ne_u32_e32 vcc, 0, v6
	v_or_b32_e32 v20, 0x1000, v4
	v_lshrrev_b32_e32 v22, v7, v14
	v_add_u32_e32 v11, 0xfffffc10, v11
	v_lshl_or_b32 v19, v9, 12, v6
	v_cndmask_b32_e64 v6, 0, 1, vcc
	v_cmp_ne_u32_e32 vcc, 0, v4
	v_lshrrev_b32_e32 v23, v10, v20
	v_lshlrev_b32_e32 v7, v7, v22
	v_lshl_or_b32 v21, v11, 12, v4
	v_cndmask_b32_e64 v4, 0, 1, vcc
	v_lshlrev_b32_e32 v10, v10, v23
	v_cmp_ne_u32_e32 vcc, v7, v14
	v_cndmask_b32_e64 v7, 0, 1, vcc
	v_cmp_ne_u32_e32 vcc, v10, v20
	v_cndmask_b32_e64 v10, 0, 1, vcc
	v_or_b32_e32 v7, v22, v7
	v_cmp_gt_i32_e32 vcc, 1, v9
	v_cndmask_b32_e32 v7, v19, v7, vcc
	v_or_b32_e32 v10, v23, v10
	v_cmp_gt_i32_e32 vcc, 1, v11
	v_and_b32_e32 v14, 7, v7
	v_cndmask_b32_e32 v10, v21, v10, vcc
	v_cmp_lt_i32_e32 vcc, 5, v14
	v_cmp_eq_u32_e64 s[0:1], 3, v14
	v_lshrrev_b32_e32 v7, 2, v7
	v_and_b32_e32 v19, 7, v10
	s_or_b64 vcc, s[0:1], vcc
	v_cmp_lt_i32_e64 s[2:3], 5, v19
	v_cmp_eq_u32_e64 s[4:5], 3, v19
	v_addc_co_u32_e32 v7, vcc, 0, v7, vcc
	v_lshrrev_b32_e32 v10, 2, v10
	s_or_b64 vcc, s[4:5], s[2:3]
	v_addc_co_u32_e32 v10, vcc, 0, v10, vcc
	v_cmp_gt_i32_e32 vcc, 31, v9
	v_cndmask_b32_e32 v7, v2, v7, vcc
	v_cmp_gt_i32_e32 vcc, 31, v11
	v_lshl_or_b32 v6, v6, 9, v2
	v_cndmask_b32_e32 v10, v2, v10, vcc
	v_cmp_eq_u32_e32 vcc, s11, v9
	v_lshrrev_b32_e32 v8, 16, v8
	v_lshl_or_b32 v4, v4, 9, v2
	v_cndmask_b32_e32 v6, v7, v6, vcc
	v_cmp_eq_u32_e32 vcc, s11, v11
	v_lshrrev_b32_e32 v5, 16, v5
	v_cndmask_b32_e32 v4, v10, v4, vcc
	v_and_or_b32 v6, v8, s14, v6
	v_and_or_b32 v4, v5, s14, v4
	v_and_b32_e32 v5, 0xffff, v6
	v_lshl_or_b32 v4, v4, 16, v5
	global_store_dword v[0:1], v4, off
	global_load_dword v6, v[12:13], off offset:1548
	ds_read2_b32 v[4:5], v18 offset0:3 offset1:138
	v_add_co_u32_e32 v0, vcc, s6, v0
	v_addc_co_u32_e32 v1, vcc, v1, v3, vcc
	s_waitcnt lgkmcnt(0)
	v_lshrrev_b32_e32 v7, 16, v4
	s_waitcnt vmcnt(0)
	v_mul_f16_sdwa v8, v7, v6 dst_sel:DWORD dst_unused:UNUSED_PAD src0_sel:DWORD src1_sel:WORD_1
	v_fma_f16 v8, v4, v6, v8
	v_mul_f16_sdwa v4, v4, v6 dst_sel:DWORD dst_unused:UNUSED_PAD src0_sel:DWORD src1_sel:WORD_1
	v_cvt_f32_f16_e32 v8, v8
	v_fma_f16 v4, v6, v7, -v4
	v_cvt_f32_f16_e32 v4, v4
	v_cvt_f64_f32_e32 v[6:7], v8
	v_cvt_f64_f32_e32 v[8:9], v4
	v_mul_f64 v[6:7], v[6:7], s[12:13]
	v_mul_f64 v[8:9], v[8:9], s[12:13]
	v_and_or_b32 v4, v7, s15, v6
	v_cmp_ne_u32_e32 vcc, 0, v4
	v_and_or_b32 v8, v9, s15, v8
	v_lshrrev_b32_e32 v6, 8, v7
	v_bfe_u32 v10, v7, 20, 11
	v_cndmask_b32_e64 v4, 0, 1, vcc
	v_cmp_ne_u32_e32 vcc, 0, v8
	v_lshrrev_b32_e32 v11, 8, v9
	v_bfe_u32 v14, v9, 20, 11
	v_sub_u32_e32 v18, 0x3f1, v10
	v_cndmask_b32_e64 v8, 0, 1, vcc
	v_and_or_b32 v4, v6, s10, v4
	v_sub_u32_e32 v19, 0x3f1, v14
	v_med3_i32 v6, v18, 0, 13
	v_and_or_b32 v8, v11, s10, v8
	v_or_b32_e32 v18, 0x1000, v4
	v_add_u32_e32 v10, 0xfffffc10, v10
	v_med3_i32 v11, v19, 0, 13
	v_cmp_ne_u32_e32 vcc, 0, v4
	v_or_b32_e32 v20, 0x1000, v8
	v_lshrrev_b32_e32 v22, v6, v18
	v_add_u32_e32 v14, 0xfffffc10, v14
	v_lshl_or_b32 v19, v10, 12, v4
	v_cndmask_b32_e64 v4, 0, 1, vcc
	v_cmp_ne_u32_e32 vcc, 0, v8
	v_lshrrev_b32_e32 v23, v11, v20
	v_lshlrev_b32_e32 v6, v6, v22
	v_lshl_or_b32 v21, v14, 12, v8
	v_cndmask_b32_e64 v8, 0, 1, vcc
	v_lshlrev_b32_e32 v11, v11, v23
	v_cmp_ne_u32_e32 vcc, v6, v18
	v_cndmask_b32_e64 v6, 0, 1, vcc
	v_cmp_ne_u32_e32 vcc, v11, v20
	v_cndmask_b32_e64 v11, 0, 1, vcc
	v_or_b32_e32 v6, v22, v6
	v_cmp_gt_i32_e32 vcc, 1, v10
	v_cndmask_b32_e32 v6, v19, v6, vcc
	v_or_b32_e32 v11, v23, v11
	v_cmp_gt_i32_e32 vcc, 1, v14
	v_and_b32_e32 v18, 7, v6
	v_cndmask_b32_e32 v11, v21, v11, vcc
	v_cmp_lt_i32_e32 vcc, 5, v18
	v_cmp_eq_u32_e64 s[0:1], 3, v18
	v_lshrrev_b32_e32 v6, 2, v6
	v_and_b32_e32 v19, 7, v11
	s_or_b64 vcc, s[0:1], vcc
	v_cmp_lt_i32_e64 s[2:3], 5, v19
	v_cmp_eq_u32_e64 s[4:5], 3, v19
	v_addc_co_u32_e32 v6, vcc, 0, v6, vcc
	v_lshrrev_b32_e32 v11, 2, v11
	s_or_b64 vcc, s[4:5], s[2:3]
	v_addc_co_u32_e32 v11, vcc, 0, v11, vcc
	v_cmp_gt_i32_e32 vcc, 31, v10
	v_cndmask_b32_e32 v6, v2, v6, vcc
	v_cmp_gt_i32_e32 vcc, 31, v14
	v_lshl_or_b32 v4, v4, 9, v2
	v_cndmask_b32_e32 v11, v2, v11, vcc
	v_cmp_eq_u32_e32 vcc, s11, v10
	v_lshrrev_b32_e32 v7, 16, v7
	v_lshl_or_b32 v8, v8, 9, v2
	v_cndmask_b32_e32 v4, v6, v4, vcc
	v_cmp_eq_u32_e32 vcc, s11, v14
	v_lshrrev_b32_e32 v9, 16, v9
	v_cndmask_b32_e32 v6, v11, v8, vcc
	v_and_or_b32 v4, v7, s14, v4
	v_and_or_b32 v6, v9, s14, v6
	v_and_b32_e32 v4, 0xffff, v4
	v_lshl_or_b32 v4, v6, 16, v4
	global_store_dword v[0:1], v4, off
	global_load_dword v4, v[12:13], off offset:2088
	v_lshrrev_b32_e32 v6, 16, v5
	v_add_co_u32_e32 v0, vcc, s6, v0
	v_addc_co_u32_e32 v1, vcc, v1, v3, vcc
	s_waitcnt vmcnt(0)
	v_mul_f16_sdwa v7, v6, v4 dst_sel:DWORD dst_unused:UNUSED_PAD src0_sel:DWORD src1_sel:WORD_1
	v_fma_f16 v7, v5, v4, v7
	v_mul_f16_sdwa v5, v5, v4 dst_sel:DWORD dst_unused:UNUSED_PAD src0_sel:DWORD src1_sel:WORD_1
	v_cvt_f32_f16_e32 v7, v7
	v_fma_f16 v4, v4, v6, -v5
	v_cvt_f32_f16_e32 v6, v4
	v_cvt_f64_f32_e32 v[4:5], v7
	v_cvt_f64_f32_e32 v[6:7], v6
	v_mul_f64 v[4:5], v[4:5], s[12:13]
	v_mul_f64 v[6:7], v[6:7], s[12:13]
	v_and_or_b32 v4, v5, s15, v4
	v_cmp_ne_u32_e32 vcc, 0, v4
	v_and_or_b32 v6, v7, s15, v6
	v_lshrrev_b32_e32 v8, 8, v5
	v_bfe_u32 v9, v5, 20, 11
	v_cndmask_b32_e64 v4, 0, 1, vcc
	v_cmp_ne_u32_e32 vcc, 0, v6
	v_lshrrev_b32_e32 v10, 8, v7
	v_bfe_u32 v11, v7, 20, 11
	v_sub_u32_e32 v14, 0x3f1, v9
	v_cndmask_b32_e64 v6, 0, 1, vcc
	v_and_or_b32 v4, v8, s10, v4
	v_sub_u32_e32 v18, 0x3f1, v11
	v_med3_i32 v8, v14, 0, 13
	v_and_or_b32 v6, v10, s10, v6
	v_or_b32_e32 v14, 0x1000, v4
	v_add_u32_e32 v9, 0xfffffc10, v9
	v_med3_i32 v10, v18, 0, 13
	v_cmp_ne_u32_e32 vcc, 0, v4
	v_or_b32_e32 v19, 0x1000, v6
	v_lshrrev_b32_e32 v21, v8, v14
	v_add_u32_e32 v11, 0xfffffc10, v11
	v_lshl_or_b32 v18, v9, 12, v4
	v_cndmask_b32_e64 v4, 0, 1, vcc
	v_cmp_ne_u32_e32 vcc, 0, v6
	v_lshrrev_b32_e32 v22, v10, v19
	v_lshlrev_b32_e32 v8, v8, v21
	v_lshl_or_b32 v20, v11, 12, v6
	v_cndmask_b32_e64 v6, 0, 1, vcc
	v_lshlrev_b32_e32 v10, v10, v22
	v_cmp_ne_u32_e32 vcc, v8, v14
	v_cndmask_b32_e64 v8, 0, 1, vcc
	v_cmp_ne_u32_e32 vcc, v10, v19
	v_cndmask_b32_e64 v10, 0, 1, vcc
	v_or_b32_e32 v8, v21, v8
	v_cmp_gt_i32_e32 vcc, 1, v9
	v_cndmask_b32_e32 v8, v18, v8, vcc
	v_or_b32_e32 v10, v22, v10
	v_cmp_gt_i32_e32 vcc, 1, v11
	v_and_b32_e32 v14, 7, v8
	v_cndmask_b32_e32 v10, v20, v10, vcc
	v_cmp_lt_i32_e32 vcc, 5, v14
	v_cmp_eq_u32_e64 s[0:1], 3, v14
	v_lshrrev_b32_e32 v8, 2, v8
	v_and_b32_e32 v18, 7, v10
	s_or_b64 vcc, s[0:1], vcc
	v_cmp_lt_i32_e64 s[2:3], 5, v18
	v_cmp_eq_u32_e64 s[4:5], 3, v18
	v_addc_co_u32_e32 v8, vcc, 0, v8, vcc
	v_lshrrev_b32_e32 v10, 2, v10
	s_or_b64 vcc, s[4:5], s[2:3]
	v_addc_co_u32_e32 v10, vcc, 0, v10, vcc
	v_cmp_gt_i32_e32 vcc, 31, v9
	v_cndmask_b32_e32 v8, v2, v8, vcc
	v_cmp_gt_i32_e32 vcc, 31, v11
	v_lshl_or_b32 v4, v4, 9, v2
	v_cndmask_b32_e32 v10, v2, v10, vcc
	v_cmp_eq_u32_e32 vcc, s11, v9
	v_lshrrev_b32_e32 v5, 16, v5
	v_lshl_or_b32 v6, v6, 9, v2
	v_cndmask_b32_e32 v4, v8, v4, vcc
	v_cmp_eq_u32_e32 vcc, s11, v11
	v_lshrrev_b32_e32 v7, 16, v7
	v_cndmask_b32_e32 v6, v10, v6, vcc
	v_and_or_b32 v4, v5, s14, v4
	v_and_or_b32 v5, v7, s14, v6
	v_and_b32_e32 v4, 0xffff, v4
	v_lshl_or_b32 v4, v5, 16, v4
	global_store_dword v[0:1], v4, off
	global_load_dword v6, v[12:13], off offset:2628
	ds_read2_b32 v[4:5], v17 offset0:17 offset1:152
	v_add_co_u32_e32 v0, vcc, s6, v0
	v_addc_co_u32_e32 v1, vcc, v1, v3, vcc
	s_waitcnt lgkmcnt(0)
	v_lshrrev_b32_e32 v7, 16, v4
	s_waitcnt vmcnt(0)
	v_mul_f16_sdwa v8, v7, v6 dst_sel:DWORD dst_unused:UNUSED_PAD src0_sel:DWORD src1_sel:WORD_1
	v_fma_f16 v8, v4, v6, v8
	v_mul_f16_sdwa v4, v4, v6 dst_sel:DWORD dst_unused:UNUSED_PAD src0_sel:DWORD src1_sel:WORD_1
	v_cvt_f32_f16_e32 v8, v8
	v_fma_f16 v4, v6, v7, -v4
	v_cvt_f32_f16_e32 v4, v4
	v_cvt_f64_f32_e32 v[6:7], v8
	v_cvt_f64_f32_e32 v[8:9], v4
	v_mul_f64 v[6:7], v[6:7], s[12:13]
	v_mul_f64 v[8:9], v[8:9], s[12:13]
	v_and_or_b32 v4, v7, s15, v6
	v_cmp_ne_u32_e32 vcc, 0, v4
	v_and_or_b32 v8, v9, s15, v8
	v_lshrrev_b32_e32 v6, 8, v7
	v_bfe_u32 v10, v7, 20, 11
	v_cndmask_b32_e64 v4, 0, 1, vcc
	v_cmp_ne_u32_e32 vcc, 0, v8
	v_lshrrev_b32_e32 v11, 8, v9
	v_bfe_u32 v14, v9, 20, 11
	v_sub_u32_e32 v17, 0x3f1, v10
	v_cndmask_b32_e64 v8, 0, 1, vcc
	v_and_or_b32 v4, v6, s10, v4
	v_sub_u32_e32 v18, 0x3f1, v14
	v_med3_i32 v6, v17, 0, 13
	v_and_or_b32 v8, v11, s10, v8
	v_or_b32_e32 v17, 0x1000, v4
	v_add_u32_e32 v10, 0xfffffc10, v10
	v_med3_i32 v11, v18, 0, 13
	v_cmp_ne_u32_e32 vcc, 0, v4
	v_or_b32_e32 v19, 0x1000, v8
	v_lshrrev_b32_e32 v21, v6, v17
	v_add_u32_e32 v14, 0xfffffc10, v14
	v_lshl_or_b32 v18, v10, 12, v4
	v_cndmask_b32_e64 v4, 0, 1, vcc
	v_cmp_ne_u32_e32 vcc, 0, v8
	v_lshrrev_b32_e32 v22, v11, v19
	v_lshlrev_b32_e32 v6, v6, v21
	v_lshl_or_b32 v20, v14, 12, v8
	v_cndmask_b32_e64 v8, 0, 1, vcc
	v_lshlrev_b32_e32 v11, v11, v22
	v_cmp_ne_u32_e32 vcc, v6, v17
	v_cndmask_b32_e64 v6, 0, 1, vcc
	v_cmp_ne_u32_e32 vcc, v11, v19
	v_cndmask_b32_e64 v11, 0, 1, vcc
	v_or_b32_e32 v6, v21, v6
	v_cmp_gt_i32_e32 vcc, 1, v10
	v_cndmask_b32_e32 v6, v18, v6, vcc
	v_or_b32_e32 v11, v22, v11
	v_cmp_gt_i32_e32 vcc, 1, v14
	v_and_b32_e32 v17, 7, v6
	v_cndmask_b32_e32 v11, v20, v11, vcc
	v_cmp_lt_i32_e32 vcc, 5, v17
	v_cmp_eq_u32_e64 s[0:1], 3, v17
	v_lshrrev_b32_e32 v6, 2, v6
	v_and_b32_e32 v18, 7, v11
	s_or_b64 vcc, s[0:1], vcc
	v_cmp_lt_i32_e64 s[2:3], 5, v18
	v_cmp_eq_u32_e64 s[4:5], 3, v18
	v_addc_co_u32_e32 v6, vcc, 0, v6, vcc
	v_lshrrev_b32_e32 v11, 2, v11
	s_or_b64 vcc, s[4:5], s[2:3]
	v_addc_co_u32_e32 v11, vcc, 0, v11, vcc
	v_cmp_gt_i32_e32 vcc, 31, v10
	v_cndmask_b32_e32 v6, v2, v6, vcc
	v_cmp_gt_i32_e32 vcc, 31, v14
	v_lshl_or_b32 v4, v4, 9, v2
	v_cndmask_b32_e32 v11, v2, v11, vcc
	v_cmp_eq_u32_e32 vcc, s11, v10
	v_lshrrev_b32_e32 v7, 16, v7
	v_lshl_or_b32 v8, v8, 9, v2
	v_cndmask_b32_e32 v4, v6, v4, vcc
	v_cmp_eq_u32_e32 vcc, s11, v14
	v_lshrrev_b32_e32 v9, 16, v9
	v_cndmask_b32_e32 v6, v11, v8, vcc
	v_and_or_b32 v4, v7, s14, v4
	v_and_or_b32 v6, v9, s14, v6
	v_and_b32_e32 v4, 0xffff, v4
	v_lshl_or_b32 v4, v6, 16, v4
	global_store_dword v[0:1], v4, off
	global_load_dword v4, v[12:13], off offset:3168
	v_lshrrev_b32_e32 v6, 16, v5
	v_add_co_u32_e32 v8, vcc, s6, v0
	v_addc_co_u32_e32 v9, vcc, v1, v3, vcc
	s_waitcnt vmcnt(0)
	v_mul_f16_sdwa v7, v6, v4 dst_sel:DWORD dst_unused:UNUSED_PAD src0_sel:DWORD src1_sel:WORD_1
	v_fma_f16 v7, v5, v4, v7
	v_mul_f16_sdwa v5, v5, v4 dst_sel:DWORD dst_unused:UNUSED_PAD src0_sel:DWORD src1_sel:WORD_1
	v_cvt_f32_f16_e32 v7, v7
	v_fma_f16 v4, v4, v6, -v5
	v_cvt_f32_f16_e32 v6, v4
	v_cvt_f64_f32_e32 v[4:5], v7
	v_cvt_f64_f32_e32 v[6:7], v6
	v_mul_f64 v[4:5], v[4:5], s[12:13]
	v_mul_f64 v[6:7], v[6:7], s[12:13]
	v_and_or_b32 v0, v5, s15, v4
	v_cmp_ne_u32_e32 vcc, 0, v0
	v_and_or_b32 v6, v7, s15, v6
	v_lshrrev_b32_e32 v1, 8, v5
	v_bfe_u32 v4, v5, 20, 11
	v_cndmask_b32_e64 v0, 0, 1, vcc
	v_cmp_ne_u32_e32 vcc, 0, v6
	v_lshrrev_b32_e32 v10, 8, v7
	v_bfe_u32 v11, v7, 20, 11
	v_sub_u32_e32 v14, 0x3f1, v4
	v_cndmask_b32_e64 v6, 0, 1, vcc
	v_and_or_b32 v0, v1, s10, v0
	v_sub_u32_e32 v17, 0x3f1, v11
	v_med3_i32 v1, v14, 0, 13
	v_and_or_b32 v6, v10, s10, v6
	v_or_b32_e32 v14, 0x1000, v0
	v_add_u32_e32 v4, 0xfffffc10, v4
	v_med3_i32 v10, v17, 0, 13
	v_cmp_ne_u32_e32 vcc, 0, v0
	v_or_b32_e32 v18, 0x1000, v6
	v_lshrrev_b32_e32 v20, v1, v14
	v_add_u32_e32 v11, 0xfffffc10, v11
	v_lshl_or_b32 v17, v4, 12, v0
	v_cndmask_b32_e64 v0, 0, 1, vcc
	v_cmp_ne_u32_e32 vcc, 0, v6
	v_lshrrev_b32_e32 v21, v10, v18
	v_lshlrev_b32_e32 v1, v1, v20
	v_lshl_or_b32 v19, v11, 12, v6
	v_cndmask_b32_e64 v6, 0, 1, vcc
	v_lshlrev_b32_e32 v10, v10, v21
	v_cmp_ne_u32_e32 vcc, v1, v14
	v_cndmask_b32_e64 v1, 0, 1, vcc
	v_cmp_ne_u32_e32 vcc, v10, v18
	v_cndmask_b32_e64 v10, 0, 1, vcc
	v_or_b32_e32 v1, v20, v1
	v_cmp_gt_i32_e32 vcc, 1, v4
	v_cndmask_b32_e32 v1, v17, v1, vcc
	v_or_b32_e32 v10, v21, v10
	v_cmp_gt_i32_e32 vcc, 1, v11
	v_and_b32_e32 v14, 7, v1
	v_cndmask_b32_e32 v10, v19, v10, vcc
	v_cmp_lt_i32_e32 vcc, 5, v14
	v_cmp_eq_u32_e64 s[0:1], 3, v14
	v_lshrrev_b32_e32 v1, 2, v1
	v_and_b32_e32 v17, 7, v10
	s_or_b64 vcc, s[0:1], vcc
	v_cmp_lt_i32_e64 s[2:3], 5, v17
	v_cmp_eq_u32_e64 s[4:5], 3, v17
	v_addc_co_u32_e32 v1, vcc, 0, v1, vcc
	v_lshrrev_b32_e32 v10, 2, v10
	s_or_b64 vcc, s[4:5], s[2:3]
	v_addc_co_u32_e32 v10, vcc, 0, v10, vcc
	v_cmp_gt_i32_e32 vcc, 31, v4
	v_cndmask_b32_e32 v1, v2, v1, vcc
	v_cmp_gt_i32_e32 vcc, 31, v11
	v_lshl_or_b32 v0, v0, 9, v2
	v_cndmask_b32_e32 v10, v2, v10, vcc
	v_cmp_eq_u32_e32 vcc, s11, v4
	v_lshrrev_b32_e32 v5, 16, v5
	v_lshl_or_b32 v6, v6, 9, v2
	v_cndmask_b32_e32 v0, v1, v0, vcc
	v_cmp_eq_u32_e32 vcc, s11, v11
	v_lshrrev_b32_e32 v7, 16, v7
	v_cndmask_b32_e32 v1, v10, v6, vcc
	v_and_or_b32 v0, v5, s14, v0
	v_and_or_b32 v1, v7, s14, v1
	v_and_b32_e32 v0, 0xffff, v0
	v_lshl_or_b32 v0, v1, 16, v0
	global_store_dword v[8:9], v0, off
	global_load_dword v0, v[12:13], off offset:3708
	ds_read2_b32 v[4:5], v16 offset0:31 offset1:166
	s_waitcnt lgkmcnt(0)
	v_lshrrev_b32_e32 v1, 16, v4
	s_waitcnt vmcnt(0)
	v_mul_f16_sdwa v6, v1, v0 dst_sel:DWORD dst_unused:UNUSED_PAD src0_sel:DWORD src1_sel:WORD_1
	v_fma_f16 v6, v4, v0, v6
	v_mul_f16_sdwa v4, v4, v0 dst_sel:DWORD dst_unused:UNUSED_PAD src0_sel:DWORD src1_sel:WORD_1
	v_cvt_f32_f16_e32 v6, v6
	v_fma_f16 v0, v0, v1, -v4
	v_cvt_f32_f16_e32 v4, v0
	v_cvt_f64_f32_e32 v[0:1], v6
	v_cvt_f64_f32_e32 v[6:7], v4
	v_mul_f64 v[10:11], v[0:1], s[12:13]
	v_add_co_u32_e32 v0, vcc, s16, v12
	v_mul_f64 v[6:7], v[6:7], s[12:13]
	v_addc_co_u32_e32 v1, vcc, 0, v13, vcc
	v_add_co_u32_e32 v8, vcc, s6, v8
	v_addc_co_u32_e32 v9, vcc, v9, v3, vcc
	v_and_or_b32 v4, v11, s15, v10
	v_and_or_b32 v6, v7, s15, v6
	v_cmp_ne_u32_e32 vcc, 0, v4
	v_lshrrev_b32_e32 v10, 8, v11
	v_bfe_u32 v12, v11, 20, 11
	v_cndmask_b32_e64 v4, 0, 1, vcc
	v_cmp_ne_u32_e32 vcc, 0, v6
	v_lshrrev_b32_e32 v13, 8, v7
	v_bfe_u32 v14, v7, 20, 11
	v_sub_u32_e32 v16, 0x3f1, v12
	v_cndmask_b32_e64 v6, 0, 1, vcc
	v_and_or_b32 v4, v10, s10, v4
	v_sub_u32_e32 v17, 0x3f1, v14
	v_med3_i32 v10, v16, 0, 13
	v_and_or_b32 v6, v13, s10, v6
	v_or_b32_e32 v16, 0x1000, v4
	v_add_u32_e32 v12, 0xfffffc10, v12
	v_med3_i32 v13, v17, 0, 13
	v_cmp_ne_u32_e32 vcc, 0, v4
	v_or_b32_e32 v18, 0x1000, v6
	v_lshrrev_b32_e32 v20, v10, v16
	v_add_u32_e32 v14, 0xfffffc10, v14
	v_lshl_or_b32 v17, v12, 12, v4
	v_cndmask_b32_e64 v4, 0, 1, vcc
	v_cmp_ne_u32_e32 vcc, 0, v6
	v_lshrrev_b32_e32 v21, v13, v18
	v_lshlrev_b32_e32 v10, v10, v20
	v_lshl_or_b32 v19, v14, 12, v6
	v_cndmask_b32_e64 v6, 0, 1, vcc
	v_lshlrev_b32_e32 v13, v13, v21
	v_cmp_ne_u32_e32 vcc, v10, v16
	v_cndmask_b32_e64 v10, 0, 1, vcc
	v_cmp_ne_u32_e32 vcc, v13, v18
	v_cndmask_b32_e64 v13, 0, 1, vcc
	v_or_b32_e32 v10, v20, v10
	v_cmp_gt_i32_e32 vcc, 1, v12
	v_cndmask_b32_e32 v10, v17, v10, vcc
	v_or_b32_e32 v13, v21, v13
	v_cmp_gt_i32_e32 vcc, 1, v14
	v_and_b32_e32 v16, 7, v10
	v_cndmask_b32_e32 v13, v19, v13, vcc
	v_cmp_lt_i32_e32 vcc, 5, v16
	v_cmp_eq_u32_e64 s[0:1], 3, v16
	v_lshrrev_b32_e32 v10, 2, v10
	v_and_b32_e32 v17, 7, v13
	s_or_b64 vcc, s[0:1], vcc
	v_cmp_lt_i32_e64 s[2:3], 5, v17
	v_cmp_eq_u32_e64 s[4:5], 3, v17
	v_addc_co_u32_e32 v10, vcc, 0, v10, vcc
	v_lshrrev_b32_e32 v13, 2, v13
	s_or_b64 vcc, s[4:5], s[2:3]
	v_addc_co_u32_e32 v13, vcc, 0, v13, vcc
	v_cmp_gt_i32_e32 vcc, 31, v12
	v_cndmask_b32_e32 v10, v2, v10, vcc
	v_cmp_gt_i32_e32 vcc, 31, v14
	v_lshl_or_b32 v4, v4, 9, v2
	v_cndmask_b32_e32 v13, v2, v13, vcc
	v_cmp_eq_u32_e32 vcc, s11, v12
	v_lshrrev_b32_e32 v11, 16, v11
	v_lshl_or_b32 v6, v6, 9, v2
	v_cndmask_b32_e32 v4, v10, v4, vcc
	v_cmp_eq_u32_e32 vcc, s11, v14
	v_lshrrev_b32_e32 v7, 16, v7
	v_cndmask_b32_e32 v6, v13, v6, vcc
	v_and_or_b32 v4, v11, s14, v4
	v_and_or_b32 v6, v7, s14, v6
	v_and_b32_e32 v4, 0xffff, v4
	v_lshl_or_b32 v4, v6, 16, v4
	global_store_dword v[8:9], v4, off
	global_load_dword v4, v[0:1], off offset:152
	v_lshrrev_b32_e32 v6, 16, v5
	v_add_co_u32_e32 v8, vcc, s6, v8
	v_addc_co_u32_e32 v9, vcc, v9, v3, vcc
	s_waitcnt vmcnt(0)
	v_mul_f16_sdwa v7, v6, v4 dst_sel:DWORD dst_unused:UNUSED_PAD src0_sel:DWORD src1_sel:WORD_1
	v_fma_f16 v7, v5, v4, v7
	v_mul_f16_sdwa v5, v5, v4 dst_sel:DWORD dst_unused:UNUSED_PAD src0_sel:DWORD src1_sel:WORD_1
	v_cvt_f32_f16_e32 v7, v7
	v_fma_f16 v4, v4, v6, -v5
	v_cvt_f32_f16_e32 v6, v4
	v_cvt_f64_f32_e32 v[4:5], v7
	v_cvt_f64_f32_e32 v[6:7], v6
	v_mul_f64 v[4:5], v[4:5], s[12:13]
	v_mul_f64 v[6:7], v[6:7], s[12:13]
	v_and_or_b32 v4, v5, s15, v4
	v_cmp_ne_u32_e32 vcc, 0, v4
	v_and_or_b32 v6, v7, s15, v6
	v_lshrrev_b32_e32 v10, 8, v5
	v_bfe_u32 v11, v5, 20, 11
	v_cndmask_b32_e64 v4, 0, 1, vcc
	v_cmp_ne_u32_e32 vcc, 0, v6
	v_lshrrev_b32_e32 v12, 8, v7
	v_bfe_u32 v13, v7, 20, 11
	v_sub_u32_e32 v14, 0x3f1, v11
	v_cndmask_b32_e64 v6, 0, 1, vcc
	v_and_or_b32 v4, v10, s10, v4
	v_sub_u32_e32 v16, 0x3f1, v13
	v_med3_i32 v10, v14, 0, 13
	v_and_or_b32 v6, v12, s10, v6
	v_or_b32_e32 v14, 0x1000, v4
	v_add_u32_e32 v11, 0xfffffc10, v11
	v_med3_i32 v12, v16, 0, 13
	v_cmp_ne_u32_e32 vcc, 0, v4
	v_or_b32_e32 v17, 0x1000, v6
	v_lshrrev_b32_e32 v19, v10, v14
	v_add_u32_e32 v13, 0xfffffc10, v13
	v_lshl_or_b32 v16, v11, 12, v4
	v_cndmask_b32_e64 v4, 0, 1, vcc
	v_cmp_ne_u32_e32 vcc, 0, v6
	v_lshrrev_b32_e32 v20, v12, v17
	v_lshlrev_b32_e32 v10, v10, v19
	v_lshl_or_b32 v18, v13, 12, v6
	v_cndmask_b32_e64 v6, 0, 1, vcc
	v_lshlrev_b32_e32 v12, v12, v20
	v_cmp_ne_u32_e32 vcc, v10, v14
	v_cndmask_b32_e64 v10, 0, 1, vcc
	v_cmp_ne_u32_e32 vcc, v12, v17
	v_cndmask_b32_e64 v12, 0, 1, vcc
	v_or_b32_e32 v10, v19, v10
	v_cmp_gt_i32_e32 vcc, 1, v11
	v_cndmask_b32_e32 v10, v16, v10, vcc
	v_or_b32_e32 v12, v20, v12
	v_cmp_gt_i32_e32 vcc, 1, v13
	v_and_b32_e32 v14, 7, v10
	v_cndmask_b32_e32 v12, v18, v12, vcc
	v_cmp_lt_i32_e32 vcc, 5, v14
	v_cmp_eq_u32_e64 s[0:1], 3, v14
	v_lshrrev_b32_e32 v10, 2, v10
	v_and_b32_e32 v16, 7, v12
	s_or_b64 vcc, s[0:1], vcc
	v_cmp_lt_i32_e64 s[2:3], 5, v16
	v_cmp_eq_u32_e64 s[4:5], 3, v16
	v_addc_co_u32_e32 v10, vcc, 0, v10, vcc
	v_lshrrev_b32_e32 v12, 2, v12
	s_or_b64 vcc, s[4:5], s[2:3]
	v_addc_co_u32_e32 v12, vcc, 0, v12, vcc
	v_cmp_gt_i32_e32 vcc, 31, v11
	v_cndmask_b32_e32 v10, v2, v10, vcc
	v_cmp_gt_i32_e32 vcc, 31, v13
	v_lshl_or_b32 v4, v4, 9, v2
	v_cndmask_b32_e32 v12, v2, v12, vcc
	v_cmp_eq_u32_e32 vcc, s11, v11
	v_lshrrev_b32_e32 v5, 16, v5
	v_lshl_or_b32 v6, v6, 9, v2
	v_cndmask_b32_e32 v4, v10, v4, vcc
	v_cmp_eq_u32_e32 vcc, s11, v13
	v_lshrrev_b32_e32 v7, 16, v7
	v_cndmask_b32_e32 v6, v12, v6, vcc
	v_and_or_b32 v4, v5, s14, v4
	v_and_or_b32 v5, v7, s14, v6
	v_and_b32_e32 v4, 0xffff, v4
	v_lshl_or_b32 v4, v5, 16, v4
	global_store_dword v[8:9], v4, off
	global_load_dword v6, v[0:1], off offset:692
	ds_read2_b32 v[4:5], v15 offset0:45 offset1:180
	v_add_co_u32_e32 v8, vcc, s6, v8
	v_addc_co_u32_e32 v9, vcc, v9, v3, vcc
	s_waitcnt lgkmcnt(0)
	v_lshrrev_b32_e32 v7, 16, v4
	s_waitcnt vmcnt(0)
	v_mul_f16_sdwa v10, v7, v6 dst_sel:DWORD dst_unused:UNUSED_PAD src0_sel:DWORD src1_sel:WORD_1
	v_fma_f16 v10, v4, v6, v10
	v_mul_f16_sdwa v4, v4, v6 dst_sel:DWORD dst_unused:UNUSED_PAD src0_sel:DWORD src1_sel:WORD_1
	v_cvt_f32_f16_e32 v10, v10
	v_fma_f16 v4, v6, v7, -v4
	v_cvt_f32_f16_e32 v4, v4
	v_cvt_f64_f32_e32 v[6:7], v10
	v_cvt_f64_f32_e32 v[10:11], v4
	v_mul_f64 v[6:7], v[6:7], s[12:13]
	v_mul_f64 v[10:11], v[10:11], s[12:13]
	v_and_or_b32 v4, v7, s15, v6
	v_cmp_ne_u32_e32 vcc, 0, v4
	v_and_or_b32 v10, v11, s15, v10
	v_lshrrev_b32_e32 v6, 8, v7
	v_bfe_u32 v12, v7, 20, 11
	v_cndmask_b32_e64 v4, 0, 1, vcc
	v_cmp_ne_u32_e32 vcc, 0, v10
	v_lshrrev_b32_e32 v13, 8, v11
	v_bfe_u32 v14, v11, 20, 11
	v_sub_u32_e32 v15, 0x3f1, v12
	v_cndmask_b32_e64 v10, 0, 1, vcc
	v_and_or_b32 v4, v6, s10, v4
	v_sub_u32_e32 v16, 0x3f1, v14
	v_med3_i32 v6, v15, 0, 13
	v_and_or_b32 v10, v13, s10, v10
	v_or_b32_e32 v15, 0x1000, v4
	v_add_u32_e32 v12, 0xfffffc10, v12
	v_med3_i32 v13, v16, 0, 13
	v_cmp_ne_u32_e32 vcc, 0, v4
	v_or_b32_e32 v17, 0x1000, v10
	v_lshrrev_b32_e32 v19, v6, v15
	v_add_u32_e32 v14, 0xfffffc10, v14
	v_lshl_or_b32 v16, v12, 12, v4
	v_cndmask_b32_e64 v4, 0, 1, vcc
	v_cmp_ne_u32_e32 vcc, 0, v10
	v_lshrrev_b32_e32 v20, v13, v17
	v_lshlrev_b32_e32 v6, v6, v19
	v_lshl_or_b32 v18, v14, 12, v10
	v_cndmask_b32_e64 v10, 0, 1, vcc
	v_lshlrev_b32_e32 v13, v13, v20
	v_cmp_ne_u32_e32 vcc, v6, v15
	v_cndmask_b32_e64 v6, 0, 1, vcc
	v_cmp_ne_u32_e32 vcc, v13, v17
	v_cndmask_b32_e64 v13, 0, 1, vcc
	v_or_b32_e32 v6, v19, v6
	v_cmp_gt_i32_e32 vcc, 1, v12
	v_cndmask_b32_e32 v6, v16, v6, vcc
	v_or_b32_e32 v13, v20, v13
	v_cmp_gt_i32_e32 vcc, 1, v14
	v_and_b32_e32 v15, 7, v6
	v_cndmask_b32_e32 v13, v18, v13, vcc
	v_cmp_lt_i32_e32 vcc, 5, v15
	v_cmp_eq_u32_e64 s[0:1], 3, v15
	v_lshrrev_b32_e32 v6, 2, v6
	v_and_b32_e32 v16, 7, v13
	s_or_b64 vcc, s[0:1], vcc
	v_cmp_lt_i32_e64 s[2:3], 5, v16
	v_cmp_eq_u32_e64 s[4:5], 3, v16
	v_addc_co_u32_e32 v6, vcc, 0, v6, vcc
	v_lshrrev_b32_e32 v13, 2, v13
	s_or_b64 vcc, s[4:5], s[2:3]
	v_addc_co_u32_e32 v13, vcc, 0, v13, vcc
	v_cmp_gt_i32_e32 vcc, 31, v12
	v_cndmask_b32_e32 v6, v2, v6, vcc
	v_cmp_gt_i32_e32 vcc, 31, v14
	v_lshl_or_b32 v4, v4, 9, v2
	v_cndmask_b32_e32 v13, v2, v13, vcc
	v_cmp_eq_u32_e32 vcc, s11, v12
	v_lshrrev_b32_e32 v7, 16, v7
	v_lshl_or_b32 v10, v10, 9, v2
	v_cndmask_b32_e32 v4, v6, v4, vcc
	v_cmp_eq_u32_e32 vcc, s11, v14
	v_lshrrev_b32_e32 v11, 16, v11
	v_cndmask_b32_e32 v6, v13, v10, vcc
	v_and_or_b32 v4, v7, s14, v4
	v_and_or_b32 v6, v11, s14, v6
	v_and_b32_e32 v4, 0xffff, v4
	v_lshl_or_b32 v4, v6, 16, v4
	global_store_dword v[8:9], v4, off
	global_load_dword v4, v[0:1], off offset:1232
	v_lshrrev_b32_e32 v6, 16, v5
	v_add_co_u32_e32 v8, vcc, s6, v8
	v_addc_co_u32_e32 v9, vcc, v9, v3, vcc
	s_waitcnt vmcnt(0)
	v_mul_f16_sdwa v7, v6, v4 dst_sel:DWORD dst_unused:UNUSED_PAD src0_sel:DWORD src1_sel:WORD_1
	v_fma_f16 v7, v5, v4, v7
	v_mul_f16_sdwa v5, v5, v4 dst_sel:DWORD dst_unused:UNUSED_PAD src0_sel:DWORD src1_sel:WORD_1
	v_cvt_f32_f16_e32 v7, v7
	v_fma_f16 v4, v4, v6, -v5
	v_cvt_f32_f16_e32 v6, v4
	v_cvt_f64_f32_e32 v[4:5], v7
	v_cvt_f64_f32_e32 v[6:7], v6
	v_mul_f64 v[4:5], v[4:5], s[12:13]
	v_mul_f64 v[6:7], v[6:7], s[12:13]
	v_and_or_b32 v4, v5, s15, v4
	v_cmp_ne_u32_e32 vcc, 0, v4
	v_and_or_b32 v6, v7, s15, v6
	v_lshrrev_b32_e32 v10, 8, v5
	v_bfe_u32 v11, v5, 20, 11
	v_cndmask_b32_e64 v4, 0, 1, vcc
	v_cmp_ne_u32_e32 vcc, 0, v6
	v_lshrrev_b32_e32 v12, 8, v7
	v_bfe_u32 v13, v7, 20, 11
	v_sub_u32_e32 v14, 0x3f1, v11
	v_cndmask_b32_e64 v6, 0, 1, vcc
	v_and_or_b32 v4, v10, s10, v4
	v_sub_u32_e32 v15, 0x3f1, v13
	v_med3_i32 v10, v14, 0, 13
	v_and_or_b32 v6, v12, s10, v6
	v_or_b32_e32 v14, 0x1000, v4
	v_add_u32_e32 v11, 0xfffffc10, v11
	v_med3_i32 v12, v15, 0, 13
	v_cmp_ne_u32_e32 vcc, 0, v4
	v_or_b32_e32 v16, 0x1000, v6
	v_lshrrev_b32_e32 v18, v10, v14
	v_add_u32_e32 v13, 0xfffffc10, v13
	v_lshl_or_b32 v15, v11, 12, v4
	v_cndmask_b32_e64 v4, 0, 1, vcc
	v_cmp_ne_u32_e32 vcc, 0, v6
	v_lshrrev_b32_e32 v19, v12, v16
	v_lshlrev_b32_e32 v10, v10, v18
	v_lshl_or_b32 v17, v13, 12, v6
	v_cndmask_b32_e64 v6, 0, 1, vcc
	v_lshlrev_b32_e32 v12, v12, v19
	v_cmp_ne_u32_e32 vcc, v10, v14
	v_cndmask_b32_e64 v10, 0, 1, vcc
	v_cmp_ne_u32_e32 vcc, v12, v16
	v_cndmask_b32_e64 v12, 0, 1, vcc
	v_or_b32_e32 v10, v18, v10
	v_cmp_gt_i32_e32 vcc, 1, v11
	v_cndmask_b32_e32 v10, v15, v10, vcc
	v_or_b32_e32 v12, v19, v12
	v_cmp_gt_i32_e32 vcc, 1, v13
	v_and_b32_e32 v14, 7, v10
	v_cndmask_b32_e32 v12, v17, v12, vcc
	v_cmp_lt_i32_e32 vcc, 5, v14
	v_cmp_eq_u32_e64 s[0:1], 3, v14
	v_lshrrev_b32_e32 v10, 2, v10
	v_and_b32_e32 v15, 7, v12
	s_or_b64 vcc, s[0:1], vcc
	v_cmp_lt_i32_e64 s[2:3], 5, v15
	v_cmp_eq_u32_e64 s[4:5], 3, v15
	v_addc_co_u32_e32 v10, vcc, 0, v10, vcc
	v_lshrrev_b32_e32 v12, 2, v12
	s_or_b64 vcc, s[4:5], s[2:3]
	v_addc_co_u32_e32 v12, vcc, 0, v12, vcc
	v_cmp_gt_i32_e32 vcc, 31, v11
	v_cndmask_b32_e32 v10, v2, v10, vcc
	v_cmp_gt_i32_e32 vcc, 31, v13
	v_lshl_or_b32 v4, v4, 9, v2
	v_cndmask_b32_e32 v12, v2, v12, vcc
	v_cmp_eq_u32_e32 vcc, s11, v11
	v_lshrrev_b32_e32 v5, 16, v5
	v_lshl_or_b32 v6, v6, 9, v2
	v_cndmask_b32_e32 v4, v10, v4, vcc
	v_cmp_eq_u32_e32 vcc, s11, v13
	v_lshrrev_b32_e32 v7, 16, v7
	v_cndmask_b32_e32 v6, v12, v6, vcc
	v_and_or_b32 v4, v5, s14, v4
	v_and_or_b32 v5, v7, s14, v6
	v_and_b32_e32 v4, 0xffff, v4
	v_lshl_or_b32 v4, v5, 16, v4
	global_store_dword v[8:9], v4, off
	global_load_dword v6, v[0:1], off offset:1772
	v_add_u32_e32 v4, 0x1600, v67
	ds_read2_b32 v[4:5], v4 offset0:59 offset1:194
	v_add_co_u32_e32 v8, vcc, s6, v8
	v_addc_co_u32_e32 v9, vcc, v9, v3, vcc
	s_waitcnt lgkmcnt(0)
	v_lshrrev_b32_e32 v7, 16, v4
	s_waitcnt vmcnt(0)
	v_mul_f16_sdwa v10, v7, v6 dst_sel:DWORD dst_unused:UNUSED_PAD src0_sel:DWORD src1_sel:WORD_1
	v_fma_f16 v10, v4, v6, v10
	v_mul_f16_sdwa v4, v4, v6 dst_sel:DWORD dst_unused:UNUSED_PAD src0_sel:DWORD src1_sel:WORD_1
	v_cvt_f32_f16_e32 v10, v10
	v_fma_f16 v4, v6, v7, -v4
	v_cvt_f32_f16_e32 v4, v4
	v_cvt_f64_f32_e32 v[6:7], v10
	v_cvt_f64_f32_e32 v[10:11], v4
	v_mul_f64 v[6:7], v[6:7], s[12:13]
	v_mul_f64 v[10:11], v[10:11], s[12:13]
	v_and_or_b32 v4, v7, s15, v6
	v_cmp_ne_u32_e32 vcc, 0, v4
	v_and_or_b32 v10, v11, s15, v10
	v_lshrrev_b32_e32 v6, 8, v7
	v_bfe_u32 v12, v7, 20, 11
	v_cndmask_b32_e64 v4, 0, 1, vcc
	v_cmp_ne_u32_e32 vcc, 0, v10
	v_lshrrev_b32_e32 v13, 8, v11
	v_bfe_u32 v14, v11, 20, 11
	v_sub_u32_e32 v15, 0x3f1, v12
	v_cndmask_b32_e64 v10, 0, 1, vcc
	v_and_or_b32 v4, v6, s10, v4
	v_sub_u32_e32 v16, 0x3f1, v14
	v_med3_i32 v6, v15, 0, 13
	v_and_or_b32 v10, v13, s10, v10
	v_or_b32_e32 v15, 0x1000, v4
	v_add_u32_e32 v12, 0xfffffc10, v12
	v_med3_i32 v13, v16, 0, 13
	v_cmp_ne_u32_e32 vcc, 0, v4
	v_or_b32_e32 v17, 0x1000, v10
	v_lshrrev_b32_e32 v19, v6, v15
	v_add_u32_e32 v14, 0xfffffc10, v14
	v_lshl_or_b32 v16, v12, 12, v4
	v_cndmask_b32_e64 v4, 0, 1, vcc
	v_cmp_ne_u32_e32 vcc, 0, v10
	v_lshrrev_b32_e32 v20, v13, v17
	v_lshlrev_b32_e32 v6, v6, v19
	v_lshl_or_b32 v18, v14, 12, v10
	v_cndmask_b32_e64 v10, 0, 1, vcc
	v_lshlrev_b32_e32 v13, v13, v20
	v_cmp_ne_u32_e32 vcc, v6, v15
	v_cndmask_b32_e64 v6, 0, 1, vcc
	v_cmp_ne_u32_e32 vcc, v13, v17
	v_cndmask_b32_e64 v13, 0, 1, vcc
	v_or_b32_e32 v6, v19, v6
	v_cmp_gt_i32_e32 vcc, 1, v12
	v_cndmask_b32_e32 v6, v16, v6, vcc
	v_or_b32_e32 v13, v20, v13
	v_cmp_gt_i32_e32 vcc, 1, v14
	v_and_b32_e32 v15, 7, v6
	v_cndmask_b32_e32 v13, v18, v13, vcc
	v_cmp_lt_i32_e32 vcc, 5, v15
	v_cmp_eq_u32_e64 s[0:1], 3, v15
	v_lshrrev_b32_e32 v6, 2, v6
	v_and_b32_e32 v16, 7, v13
	s_or_b64 vcc, s[0:1], vcc
	v_cmp_lt_i32_e64 s[2:3], 5, v16
	v_cmp_eq_u32_e64 s[4:5], 3, v16
	v_addc_co_u32_e32 v6, vcc, 0, v6, vcc
	v_lshrrev_b32_e32 v13, 2, v13
	s_or_b64 vcc, s[4:5], s[2:3]
	v_addc_co_u32_e32 v13, vcc, 0, v13, vcc
	v_cmp_gt_i32_e32 vcc, 31, v12
	v_cndmask_b32_e32 v6, v2, v6, vcc
	v_cmp_gt_i32_e32 vcc, 31, v14
	v_lshl_or_b32 v4, v4, 9, v2
	v_cndmask_b32_e32 v13, v2, v13, vcc
	v_cmp_eq_u32_e32 vcc, s11, v12
	v_lshrrev_b32_e32 v7, 16, v7
	v_lshl_or_b32 v10, v10, 9, v2
	v_cndmask_b32_e32 v4, v6, v4, vcc
	v_cmp_eq_u32_e32 vcc, s11, v14
	v_lshrrev_b32_e32 v11, 16, v11
	v_cndmask_b32_e32 v6, v13, v10, vcc
	v_and_or_b32 v4, v7, s14, v4
	v_and_or_b32 v6, v11, s14, v6
	v_and_b32_e32 v4, 0xffff, v4
	v_lshl_or_b32 v4, v6, 16, v4
	global_store_dword v[8:9], v4, off
	global_load_dword v4, v[0:1], off offset:2312
	v_lshrrev_b32_e32 v6, 16, v5
	v_add_co_u32_e32 v8, vcc, s6, v8
	v_addc_co_u32_e32 v9, vcc, v9, v3, vcc
	s_waitcnt vmcnt(0)
	v_mul_f16_sdwa v7, v6, v4 dst_sel:DWORD dst_unused:UNUSED_PAD src0_sel:DWORD src1_sel:WORD_1
	v_fma_f16 v7, v5, v4, v7
	v_mul_f16_sdwa v5, v5, v4 dst_sel:DWORD dst_unused:UNUSED_PAD src0_sel:DWORD src1_sel:WORD_1
	v_cvt_f32_f16_e32 v7, v7
	v_fma_f16 v4, v4, v6, -v5
	v_cvt_f32_f16_e32 v6, v4
	v_cvt_f64_f32_e32 v[4:5], v7
	v_cvt_f64_f32_e32 v[6:7], v6
	v_mul_f64 v[4:5], v[4:5], s[12:13]
	v_mul_f64 v[6:7], v[6:7], s[12:13]
	v_and_or_b32 v4, v5, s15, v4
	v_cmp_ne_u32_e32 vcc, 0, v4
	v_and_or_b32 v6, v7, s15, v6
	v_lshrrev_b32_e32 v10, 8, v5
	v_bfe_u32 v11, v5, 20, 11
	v_cndmask_b32_e64 v4, 0, 1, vcc
	v_cmp_ne_u32_e32 vcc, 0, v6
	v_lshrrev_b32_e32 v12, 8, v7
	v_bfe_u32 v13, v7, 20, 11
	v_sub_u32_e32 v14, 0x3f1, v11
	v_cndmask_b32_e64 v6, 0, 1, vcc
	v_and_or_b32 v4, v10, s10, v4
	v_sub_u32_e32 v15, 0x3f1, v13
	v_med3_i32 v10, v14, 0, 13
	v_and_or_b32 v6, v12, s10, v6
	v_or_b32_e32 v14, 0x1000, v4
	v_add_u32_e32 v11, 0xfffffc10, v11
	v_med3_i32 v12, v15, 0, 13
	v_cmp_ne_u32_e32 vcc, 0, v4
	v_or_b32_e32 v16, 0x1000, v6
	v_lshrrev_b32_e32 v18, v10, v14
	v_add_u32_e32 v13, 0xfffffc10, v13
	v_lshl_or_b32 v15, v11, 12, v4
	v_cndmask_b32_e64 v4, 0, 1, vcc
	v_cmp_ne_u32_e32 vcc, 0, v6
	v_lshrrev_b32_e32 v19, v12, v16
	v_lshlrev_b32_e32 v10, v10, v18
	v_lshl_or_b32 v17, v13, 12, v6
	v_cndmask_b32_e64 v6, 0, 1, vcc
	v_lshlrev_b32_e32 v12, v12, v19
	v_cmp_ne_u32_e32 vcc, v10, v14
	v_cndmask_b32_e64 v10, 0, 1, vcc
	v_cmp_ne_u32_e32 vcc, v12, v16
	v_cndmask_b32_e64 v12, 0, 1, vcc
	v_or_b32_e32 v10, v18, v10
	v_cmp_gt_i32_e32 vcc, 1, v11
	v_cndmask_b32_e32 v10, v15, v10, vcc
	v_or_b32_e32 v12, v19, v12
	v_cmp_gt_i32_e32 vcc, 1, v13
	v_and_b32_e32 v14, 7, v10
	v_cndmask_b32_e32 v12, v17, v12, vcc
	v_cmp_lt_i32_e32 vcc, 5, v14
	v_cmp_eq_u32_e64 s[0:1], 3, v14
	v_lshrrev_b32_e32 v10, 2, v10
	v_and_b32_e32 v15, 7, v12
	s_or_b64 vcc, s[0:1], vcc
	v_cmp_lt_i32_e64 s[2:3], 5, v15
	v_cmp_eq_u32_e64 s[4:5], 3, v15
	v_addc_co_u32_e32 v10, vcc, 0, v10, vcc
	v_lshrrev_b32_e32 v12, 2, v12
	s_or_b64 vcc, s[4:5], s[2:3]
	v_addc_co_u32_e32 v12, vcc, 0, v12, vcc
	v_cmp_gt_i32_e32 vcc, 31, v11
	v_cndmask_b32_e32 v10, v2, v10, vcc
	v_cmp_gt_i32_e32 vcc, 31, v13
	v_lshl_or_b32 v4, v4, 9, v2
	v_cndmask_b32_e32 v12, v2, v12, vcc
	v_cmp_eq_u32_e32 vcc, s11, v11
	v_lshrrev_b32_e32 v5, 16, v5
	v_lshl_or_b32 v6, v6, 9, v2
	v_cndmask_b32_e32 v4, v10, v4, vcc
	v_cmp_eq_u32_e32 vcc, s11, v13
	v_lshrrev_b32_e32 v7, 16, v7
	v_cndmask_b32_e32 v6, v12, v6, vcc
	v_and_or_b32 v4, v5, s14, v4
	v_and_or_b32 v5, v7, s14, v6
	v_and_b32_e32 v4, 0xffff, v4
	v_lshl_or_b32 v4, v5, 16, v4
	global_store_dword v[8:9], v4, off
	global_load_dword v0, v[0:1], off offset:2852
	ds_read_b32 v1, v67 offset:6948
	s_waitcnt lgkmcnt(0)
	v_lshrrev_b32_e32 v4, 16, v1
	s_waitcnt vmcnt(0)
	v_mul_f16_sdwa v5, v4, v0 dst_sel:DWORD dst_unused:UNUSED_PAD src0_sel:DWORD src1_sel:WORD_1
	v_fma_f16 v5, v1, v0, v5
	v_mul_f16_sdwa v1, v1, v0 dst_sel:DWORD dst_unused:UNUSED_PAD src0_sel:DWORD src1_sel:WORD_1
	v_cvt_f32_f16_e32 v5, v5
	v_fma_f16 v0, v0, v4, -v1
	v_cvt_f32_f16_e32 v4, v0
	v_cvt_f64_f32_e32 v[0:1], v5
	v_cvt_f64_f32_e32 v[4:5], v4
	v_mul_f64 v[0:1], v[0:1], s[12:13]
	v_mul_f64 v[4:5], v[4:5], s[12:13]
	v_and_or_b32 v0, v1, s15, v0
	v_cmp_ne_u32_e32 vcc, 0, v0
	v_and_or_b32 v4, v5, s15, v4
	v_lshrrev_b32_e32 v6, 8, v1
	v_bfe_u32 v7, v1, 20, 11
	v_cndmask_b32_e64 v0, 0, 1, vcc
	v_cmp_ne_u32_e32 vcc, 0, v4
	v_lshrrev_b32_e32 v10, 8, v5
	v_bfe_u32 v11, v5, 20, 11
	v_sub_u32_e32 v12, 0x3f1, v7
	v_cndmask_b32_e64 v4, 0, 1, vcc
	v_and_or_b32 v0, v6, s10, v0
	v_sub_u32_e32 v13, 0x3f1, v11
	v_med3_i32 v6, v12, 0, 13
	v_and_or_b32 v4, v10, s10, v4
	v_or_b32_e32 v12, 0x1000, v0
	v_add_u32_e32 v7, 0xfffffc10, v7
	v_med3_i32 v10, v13, 0, 13
	v_cmp_ne_u32_e32 vcc, 0, v0
	v_or_b32_e32 v14, 0x1000, v4
	v_lshrrev_b32_e32 v16, v6, v12
	v_add_u32_e32 v11, 0xfffffc10, v11
	v_lshl_or_b32 v13, v7, 12, v0
	v_cndmask_b32_e64 v0, 0, 1, vcc
	v_cmp_ne_u32_e32 vcc, 0, v4
	v_lshrrev_b32_e32 v17, v10, v14
	v_lshlrev_b32_e32 v6, v6, v16
	v_lshl_or_b32 v15, v11, 12, v4
	v_cndmask_b32_e64 v4, 0, 1, vcc
	v_lshlrev_b32_e32 v10, v10, v17
	v_cmp_ne_u32_e32 vcc, v6, v12
	v_cndmask_b32_e64 v6, 0, 1, vcc
	v_cmp_ne_u32_e32 vcc, v10, v14
	v_cndmask_b32_e64 v10, 0, 1, vcc
	v_or_b32_e32 v6, v16, v6
	v_cmp_gt_i32_e32 vcc, 1, v7
	v_cndmask_b32_e32 v6, v13, v6, vcc
	v_or_b32_e32 v10, v17, v10
	v_cmp_gt_i32_e32 vcc, 1, v11
	v_and_b32_e32 v12, 7, v6
	v_cndmask_b32_e32 v10, v15, v10, vcc
	v_cmp_lt_i32_e32 vcc, 5, v12
	v_cmp_eq_u32_e64 s[0:1], 3, v12
	v_lshrrev_b32_e32 v6, 2, v6
	v_and_b32_e32 v13, 7, v10
	s_or_b64 vcc, s[0:1], vcc
	v_cmp_lt_i32_e64 s[2:3], 5, v13
	v_cmp_eq_u32_e64 s[4:5], 3, v13
	v_addc_co_u32_e32 v6, vcc, 0, v6, vcc
	v_lshrrev_b32_e32 v10, 2, v10
	s_or_b64 vcc, s[4:5], s[2:3]
	v_addc_co_u32_e32 v10, vcc, 0, v10, vcc
	v_cmp_gt_i32_e32 vcc, 31, v7
	v_cndmask_b32_e32 v6, v2, v6, vcc
	v_cmp_gt_i32_e32 vcc, 31, v11
	v_lshl_or_b32 v0, v0, 9, v2
	v_lshl_or_b32 v4, v4, 9, v2
	v_cndmask_b32_e32 v2, v2, v10, vcc
	v_cmp_eq_u32_e32 vcc, s11, v7
	v_lshrrev_b32_e32 v1, 16, v1
	v_cndmask_b32_e32 v0, v6, v0, vcc
	v_cmp_eq_u32_e32 vcc, s11, v11
	v_lshrrev_b32_e32 v5, 16, v5
	v_cndmask_b32_e32 v2, v2, v4, vcc
	v_and_or_b32 v0, v1, s14, v0
	v_and_or_b32 v1, v5, s14, v2
	v_and_b32_e32 v0, 0xffff, v0
	v_lshl_or_b32 v2, v1, 16, v0
	v_add_co_u32_e32 v0, vcc, s6, v8
	v_addc_co_u32_e32 v1, vcc, v9, v3, vcc
	global_store_dword v[0:1], v2, off
.LBB0_15:
	s_endpgm
	.section	.rodata,"a",@progbits
	.p2align	6, 0x0
	.amdhsa_kernel bluestein_single_back_len1755_dim1_half_op_CI_CI
		.amdhsa_group_segment_fixed_size 7020
		.amdhsa_private_segment_fixed_size 0
		.amdhsa_kernarg_size 104
		.amdhsa_user_sgpr_count 6
		.amdhsa_user_sgpr_private_segment_buffer 1
		.amdhsa_user_sgpr_dispatch_ptr 0
		.amdhsa_user_sgpr_queue_ptr 0
		.amdhsa_user_sgpr_kernarg_segment_ptr 1
		.amdhsa_user_sgpr_dispatch_id 0
		.amdhsa_user_sgpr_flat_scratch_init 0
		.amdhsa_user_sgpr_private_segment_size 0
		.amdhsa_uses_dynamic_stack 0
		.amdhsa_system_sgpr_private_segment_wavefront_offset 0
		.amdhsa_system_sgpr_workgroup_id_x 1
		.amdhsa_system_sgpr_workgroup_id_y 0
		.amdhsa_system_sgpr_workgroup_id_z 0
		.amdhsa_system_sgpr_workgroup_info 0
		.amdhsa_system_vgpr_workitem_id 0
		.amdhsa_next_free_vgpr 194
		.amdhsa_next_free_sgpr 35
		.amdhsa_reserve_vcc 1
		.amdhsa_reserve_flat_scratch 0
		.amdhsa_float_round_mode_32 0
		.amdhsa_float_round_mode_16_64 0
		.amdhsa_float_denorm_mode_32 3
		.amdhsa_float_denorm_mode_16_64 3
		.amdhsa_dx10_clamp 1
		.amdhsa_ieee_mode 1
		.amdhsa_fp16_overflow 0
		.amdhsa_exception_fp_ieee_invalid_op 0
		.amdhsa_exception_fp_denorm_src 0
		.amdhsa_exception_fp_ieee_div_zero 0
		.amdhsa_exception_fp_ieee_overflow 0
		.amdhsa_exception_fp_ieee_underflow 0
		.amdhsa_exception_fp_ieee_inexact 0
		.amdhsa_exception_int_div_zero 0
	.end_amdhsa_kernel
	.text
.Lfunc_end0:
	.size	bluestein_single_back_len1755_dim1_half_op_CI_CI, .Lfunc_end0-bluestein_single_back_len1755_dim1_half_op_CI_CI
                                        ; -- End function
	.section	.AMDGPU.csdata,"",@progbits
; Kernel info:
; codeLenInByte = 40068
; NumSgprs: 39
; NumVgprs: 194
; ScratchSize: 0
; MemoryBound: 0
; FloatMode: 240
; IeeeMode: 1
; LDSByteSize: 7020 bytes/workgroup (compile time only)
; SGPRBlocks: 4
; VGPRBlocks: 48
; NumSGPRsForWavesPerEU: 39
; NumVGPRsForWavesPerEU: 194
; Occupancy: 1
; WaveLimiterHint : 1
; COMPUTE_PGM_RSRC2:SCRATCH_EN: 0
; COMPUTE_PGM_RSRC2:USER_SGPR: 6
; COMPUTE_PGM_RSRC2:TRAP_HANDLER: 0
; COMPUTE_PGM_RSRC2:TGID_X_EN: 1
; COMPUTE_PGM_RSRC2:TGID_Y_EN: 0
; COMPUTE_PGM_RSRC2:TGID_Z_EN: 0
; COMPUTE_PGM_RSRC2:TIDIG_COMP_CNT: 0
	.type	__hip_cuid_64e510b916fa6bb8,@object ; @__hip_cuid_64e510b916fa6bb8
	.section	.bss,"aw",@nobits
	.globl	__hip_cuid_64e510b916fa6bb8
__hip_cuid_64e510b916fa6bb8:
	.byte	0                               ; 0x0
	.size	__hip_cuid_64e510b916fa6bb8, 1

	.ident	"AMD clang version 19.0.0git (https://github.com/RadeonOpenCompute/llvm-project roc-6.4.0 25133 c7fe45cf4b819c5991fe208aaa96edf142730f1d)"
	.section	".note.GNU-stack","",@progbits
	.addrsig
	.addrsig_sym __hip_cuid_64e510b916fa6bb8
	.amdgpu_metadata
---
amdhsa.kernels:
  - .args:
      - .actual_access:  read_only
        .address_space:  global
        .offset:         0
        .size:           8
        .value_kind:     global_buffer
      - .actual_access:  read_only
        .address_space:  global
        .offset:         8
        .size:           8
        .value_kind:     global_buffer
      - .actual_access:  read_only
        .address_space:  global
        .offset:         16
        .size:           8
        .value_kind:     global_buffer
      - .actual_access:  read_only
        .address_space:  global
        .offset:         24
        .size:           8
        .value_kind:     global_buffer
      - .actual_access:  read_only
        .address_space:  global
        .offset:         32
        .size:           8
        .value_kind:     global_buffer
      - .offset:         40
        .size:           8
        .value_kind:     by_value
      - .address_space:  global
        .offset:         48
        .size:           8
        .value_kind:     global_buffer
      - .address_space:  global
        .offset:         56
        .size:           8
        .value_kind:     global_buffer
      - .address_space:  global
        .offset:         64
        .size:           8
        .value_kind:     global_buffer
      - .address_space:  global
        .offset:         72
        .size:           8
        .value_kind:     global_buffer
      - .offset:         80
        .size:           4
        .value_kind:     by_value
      - .address_space:  global
        .offset:         88
        .size:           8
        .value_kind:     global_buffer
      - .address_space:  global
        .offset:         96
        .size:           8
        .value_kind:     global_buffer
    .group_segment_fixed_size: 7020
    .kernarg_segment_align: 8
    .kernarg_segment_size: 104
    .language:       OpenCL C
    .language_version:
      - 2
      - 0
    .max_flat_workgroup_size: 117
    .name:           bluestein_single_back_len1755_dim1_half_op_CI_CI
    .private_segment_fixed_size: 0
    .sgpr_count:     39
    .sgpr_spill_count: 0
    .symbol:         bluestein_single_back_len1755_dim1_half_op_CI_CI.kd
    .uniform_work_group_size: 1
    .uses_dynamic_stack: false
    .vgpr_count:     194
    .vgpr_spill_count: 0
    .wavefront_size: 64
amdhsa.target:   amdgcn-amd-amdhsa--gfx906
amdhsa.version:
  - 1
  - 2
...

	.end_amdgpu_metadata
